;; amdgpu-corpus repo=ROCm/rocFFT kind=compiled arch=gfx1201 opt=O3
	.text
	.amdgcn_target "amdgcn-amd-amdhsa--gfx1201"
	.amdhsa_code_object_version 6
	.protected	fft_rtc_back_len289_factors_17_17_wgs_119_tpt_17_half_op_CI_CI_sbrc_z_xy_aligned ; -- Begin function fft_rtc_back_len289_factors_17_17_wgs_119_tpt_17_half_op_CI_CI_sbrc_z_xy_aligned
	.globl	fft_rtc_back_len289_factors_17_17_wgs_119_tpt_17_half_op_CI_CI_sbrc_z_xy_aligned
	.p2align	8
	.type	fft_rtc_back_len289_factors_17_17_wgs_119_tpt_17_half_op_CI_CI_sbrc_z_xy_aligned,@function
fft_rtc_back_len289_factors_17_17_wgs_119_tpt_17_half_op_CI_CI_sbrc_z_xy_aligned: ; @fft_rtc_back_len289_factors_17_17_wgs_119_tpt_17_half_op_CI_CI_sbrc_z_xy_aligned
; %bb.0:
	s_load_b256 s[4:11], s[0:1], 0x0
	v_add_nc_u32_e32 v4, 0x1dc, v0
	v_add_nc_u32_e32 v1, 0xee, v0
	;; [unrolled: 1-line block ×5, first 2 shown]
	v_mul_u32_u24_e32 v8, 0xe3, v4
	v_mul_u32_u24_e32 v6, 0xe3, v1
	;; [unrolled: 1-line block ×5, first 2 shown]
	v_lshrrev_b32_e32 v25, 16, v8
	v_lshrrev_b32_e32 v11, 16, v6
	;; [unrolled: 1-line block ×5, first 2 shown]
	v_mul_lo_u16 v9, 0x121, v25
	v_mul_lo_u16 v6, 0x121, v11
	v_mul_lo_u16 v7, 0x121, v15
	v_mul_lo_u16 v10, 0x121, v26
	s_wait_kmcnt 0x0
	s_load_b128 s[16:19], s[8:9], 0x8
	s_clause 0x1
	s_load_b128 s[12:15], s[0:1], 0x58
	s_load_b64 s[20:21], s[0:1], 0x20
	v_sub_nc_u16 v1, v1, v6
	v_dual_mov_b32 v2, 0 :: v_dual_add_nc_u32 v17, 0x77, v0
	v_sub_nc_u16 v3, v3, v7
	v_sub_nc_u16 v4, v4, v9
	;; [unrolled: 1-line block ×3, first 2 shown]
	v_and_b32_e32 v18, 0xffff, v1
	s_mov_b32 s9, 0
	v_and_b32_e32 v19, 0xffff, v3
	v_and_b32_e32 v20, 0xffff, v4
	;; [unrolled: 1-line block ×3, first 2 shown]
	s_wait_kmcnt 0x0
	s_mov_b32 s17, s9
	s_load_b32 s23, s[10:11], 0x10
	s_add_co_i32 s0, s16, -1
	s_delay_alu instid0(SALU_CYCLE_1) | instskip(NEXT) | instid1(SALU_CYCLE_1)
	s_mul_hi_u32 s1, s0, 0x24924925
	s_sub_co_i32 s0, s0, s1
	s_delay_alu instid0(SALU_CYCLE_1) | instskip(NEXT) | instid1(SALU_CYCLE_1)
	s_lshr_b32 s0, s0, 1
	s_add_co_i32 s0, s0, s1
	s_delay_alu instid0(SALU_CYCLE_1)
	s_lshr_b32 s8, s0, 2
	s_load_b128 s[0:3], s[10:11], 0x0
	s_add_co_i32 s19, s8, 1
	s_wait_kmcnt 0x0
	s_mul_i32 s3, s19, s18
	s_cvt_f32_u32 s18, s19
	s_cvt_f32_u32 s16, s3
	s_sub_co_i32 s22, 0, s3
	s_delay_alu instid0(SALU_CYCLE_1) | instskip(NEXT) | instid1(SALU_CYCLE_1)
	v_rcp_iflag_f32_e32 v13, s18
	v_rcp_iflag_f32_e32 v8, s16
	s_delay_alu instid0(TRANS32_DEP_1) | instskip(SKIP_2) | instid1(VALU_DEP_3)
	v_readfirstlane_b32 s16, v8
	v_mad_co_u64_u32 v[3:4], null, s0, v0, 0
	v_mad_co_u64_u32 v[5:6], null, s0, v17, 0
	s_mul_f32 s16, s16, 0x4f7ffffe
	v_mul_lo_u32 v1, s2, v11
	v_mad_co_u64_u32 v[7:8], null, s0, v18, 0
	s_wait_alu 0xfffe
	s_cvt_u32_f32 s16, s16
	v_mad_co_u64_u32 v[9:10], null, s0, v19, 0
	v_mad_co_u64_u32 v[11:12], null, s0, v20, 0
	s_wait_alu 0xfffe
	s_mul_i32 s22, s22, s16
	s_delay_alu instid0(SALU_CYCLE_1)
	s_mul_hi_u32 s18, s16, s22
	v_readfirstlane_b32 s22, v13
	s_wait_alu 0xfffe
	s_add_co_i32 s16, s16, s18
	v_lshlrev_b64_e32 v[13:14], 2, v[1:2]
	s_wait_alu 0xfffe
	s_mul_hi_u32 s16, ttmp9, s16
	v_mul_lo_u32 v1, s2, v15
	s_wait_alu 0xfffe
	s_mul_i32 s18, s16, s3
	s_add_co_i32 s24, s16, 1
	s_wait_alu 0xfffe
	s_sub_co_i32 s18, ttmp9, s18
	s_mul_f32 s22, s22, 0x4f7ffffe
	s_wait_alu 0xfffe
	s_sub_co_i32 s25, s18, s3
	s_cmp_ge_u32 s18, s3
	v_mad_co_u64_u32 v[15:16], null, s1, v0, v[4:5]
	s_cselect_b32 s16, s24, s16
	s_cselect_b32 s18, s25, s18
	s_wait_alu 0xfffe
	s_add_co_i32 s24, s16, 1
	s_cmp_ge_u32 s18, s3
	s_cvt_u32_f32 s18, s22
	s_cselect_b32 s16, s24, s16
	s_not_b32 s8, s8
	s_wait_alu 0xfffe
	s_mul_i32 s3, s16, s3
	s_mul_i32 s8, s8, s18
	s_wait_alu 0xfffe
	s_sub_co_i32 s3, ttmp9, s3
	s_mul_hi_u32 s8, s18, s8
	v_mad_co_u64_u32 v[16:17], null, s1, v17, v[6:7]
	s_add_co_i32 s18, s18, s8
	v_mad_co_u64_u32 v[17:18], null, s1, v18, v[8:9]
	s_wait_alu 0xfffe
	s_mul_hi_u32 s8, s3, s18
	s_mul_hi_u32 s18, ttmp9, s18
	s_mul_i32 s22, s8, s19
	s_wait_alu 0xfffe
	s_mul_i32 s18, s18, s19
	s_sub_co_i32 s3, s3, s22
	s_add_co_i32 s22, s8, 1
	s_wait_alu 0xfffe
	s_sub_co_i32 s24, s3, s19
	s_cmp_ge_u32 s3, s19
	v_mov_b32_e32 v4, v15
	s_cselect_b32 s8, s22, s8
	s_cselect_b32 s3, s24, s3
	s_add_co_i32 s22, s8, 1
	s_wait_alu 0xfffe
	s_cmp_ge_u32 s3, s19
	v_mad_co_u64_u32 v[18:19], null, s1, v19, v[10:11]
	s_cselect_b32 s22, s22, s8
	s_sub_co_i32 s3, ttmp9, s18
	v_mov_b32_e32 v6, v16
	s_wait_alu 0xfffe
	s_sub_co_i32 s8, s3, s19
	s_cmp_ge_u32 s3, s19
	v_lshlrev_b64_e32 v[3:4], 2, v[3:4]
	s_cselect_b32 s3, s8, s3
	v_mov_b32_e32 v8, v17
	s_wait_alu 0xfffe
	s_sub_co_i32 s8, s3, s19
	s_cmp_ge_u32 s3, s19
	v_lshlrev_b64_e32 v[5:6], 2, v[5:6]
	s_cselect_b32 s3, s8, s3
	s_lshl_b64 s[18:19], s[6:7], 3
	v_mov_b32_e32 v10, v18
	s_wait_alu 0xfffe
	s_add_nc_u64 s[6:7], s[10:11], s[18:19]
	v_lshlrev_b64_e32 v[7:8], 2, v[7:8]
	s_load_b64 s[10:11], s[6:7], 0x0
	s_mul_i32 s6, s3, 7
	s_mul_i32 s3, s22, s23
	;; [unrolled: 1-line block ×3, first 2 shown]
	v_mad_co_u64_u32 v[19:20], null, s1, v20, v[12:13]
	s_wait_alu 0xfffe
	s_add_co_i32 s8, s7, s3
	v_lshlrev_b64_e32 v[9:10], 2, v[9:10]
	s_lshl_b64 s[24:25], s[8:9], 2
	v_mad_co_u64_u32 v[20:21], null, s0, v28, 0
	v_mul_lo_u16 v15, 0x121, v27
	v_add_nc_u32_e32 v16, 0x341, v0
	v_lshlrev_b64_e32 v[22:23], 2, v[1:2]
	v_mul_lo_u32 v1, s2, v25
	s_mov_b32 s7, s9
	s_wait_kmcnt 0x0
	s_mul_u64 s[10:11], s[10:11], s[16:17]
	s_delay_alu instid0(SALU_CYCLE_1) | instskip(NEXT) | instid1(SALU_CYCLE_1)
	s_lshl_b64 s[10:11], s[10:11], 2
	s_add_nc_u64 s[10:11], s[12:13], s[10:11]
	s_delay_alu instid0(SALU_CYCLE_1) | instskip(NEXT) | instid1(SALU_CYCLE_1)
	s_add_nc_u64 s[10:11], s[10:11], s[24:25]
	v_add_co_u32 v3, vcc_lo, s10, v3
	v_add_co_ci_u32_e32 v4, vcc_lo, s11, v4, vcc_lo
	v_add_co_u32 v5, vcc_lo, s10, v5
	s_wait_alu 0xfffd
	v_add_co_ci_u32_e32 v6, vcc_lo, s11, v6, vcc_lo
	v_add_co_u32 v7, vcc_lo, s10, v7
	s_wait_alu 0xfffd
	;; [unrolled: 3-line block ×3, first 2 shown]
	v_add_co_ci_u32_e32 v10, vcc_lo, s11, v10, vcc_lo
	v_add_co_u32 v7, vcc_lo, v7, v13
	v_mov_b32_e32 v13, v21
	s_wait_alu 0xfffd
	v_add_co_ci_u32_e32 v8, vcc_lo, v8, v14, vcc_lo
	v_add_co_u32 v9, vcc_lo, v9, v22
	s_delay_alu instid0(VALU_DEP_3) | instskip(SKIP_2) | instid1(VALU_DEP_2)
	v_mad_co_u64_u32 v[13:14], null, s1, v28, v[13:14]
	s_wait_alu 0xfffd
	v_add_co_ci_u32_e32 v10, vcc_lo, v10, v23, vcc_lo
	v_mov_b32_e32 v21, v13
	v_sub_nc_u16 v14, v24, v15
	v_mul_u32_u24_e32 v15, 0xe3, v16
	s_delay_alu instid0(VALU_DEP_2) | instskip(NEXT) | instid1(VALU_DEP_2)
	v_dual_mov_b32 v12, v19 :: v_dual_and_b32 v19, 0xffff, v14
	v_lshrrev_b32_e32 v22, 16, v15
	s_delay_alu instid0(VALU_DEP_2) | instskip(NEXT) | instid1(VALU_DEP_3)
	v_lshlrev_b64_e32 v[11:12], 2, v[11:12]
	v_mad_co_u64_u32 v[13:14], null, s0, v19, 0
	s_delay_alu instid0(VALU_DEP_3) | instskip(NEXT) | instid1(VALU_DEP_3)
	v_mul_lo_u16 v15, 0x121, v22
	v_add_co_u32 v17, vcc_lo, s10, v11
	s_wait_alu 0xfffd
	s_delay_alu instid0(VALU_DEP_4) | instskip(NEXT) | instid1(VALU_DEP_3)
	v_add_co_ci_u32_e32 v18, vcc_lo, s11, v12, vcc_lo
	v_sub_nc_u16 v24, v16, v15
	v_lshlrev_b64_e32 v[15:16], 2, v[20:21]
	v_lshlrev_b64_e32 v[11:12], 2, v[1:2]
	v_mul_lo_u32 v1, s2, v26
	s_delay_alu instid0(VALU_DEP_4) | instskip(NEXT) | instid1(VALU_DEP_4)
	v_and_b32_e32 v24, 0xffff, v24
	v_mad_co_u64_u32 v[19:20], null, s1, v19, v[14:15]
	v_add_nc_u32_e32 v23, 0x3b8, v0
	v_add_co_u32 v11, vcc_lo, v17, v11
	s_wait_alu 0xfffd
	v_add_co_ci_u32_e32 v12, vcc_lo, v18, v12, vcc_lo
	v_lshlrev_b64_e32 v[17:18], 2, v[1:2]
	v_mov_b32_e32 v14, v19
	v_mul_u32_u24_e32 v25, 0x717, v23
	v_mad_co_u64_u32 v[20:21], null, s0, v24, 0
	v_add_co_u32 v15, vcc_lo, s10, v15
	s_delay_alu instid0(VALU_DEP_3) | instskip(SKIP_2) | instid1(VALU_DEP_3)
	v_lshrrev_b32_e32 v25, 19, v25
	s_wait_alu 0xfffd
	v_add_co_ci_u32_e32 v16, vcc_lo, s11, v16, vcc_lo
	v_add_co_u32 v15, vcc_lo, v15, v17
	s_delay_alu instid0(VALU_DEP_3)
	v_mul_lo_u16 v1, 0x121, v25
	v_mov_b32_e32 v17, v21
	s_wait_alu 0xfffd
	v_add_co_ci_u32_e32 v16, vcc_lo, v16, v18, vcc_lo
	v_lshlrev_b64_e32 v[13:14], 2, v[13:14]
	v_sub_nc_u16 v19, v23, v1
	v_mul_lo_u32 v1, s2, v27
	v_mad_co_u64_u32 v[17:18], null, s1, v24, v[17:18]
	v_add_nc_u32_e32 v27, 0x42f, v0
	s_delay_alu instid0(VALU_DEP_4) | instskip(SKIP_3) | instid1(VALU_DEP_3)
	v_and_b32_e32 v23, 0xffff, v19
	v_add_co_u32 v24, vcc_lo, s10, v13
	s_wait_alu 0xfffd
	v_add_co_ci_u32_e32 v26, vcc_lo, s11, v14, vcc_lo
	v_mad_co_u64_u32 v[18:19], null, s0, v23, 0
	v_lshlrev_b64_e32 v[13:14], 2, v[1:2]
	v_mov_b32_e32 v21, v17
	v_mul_lo_u32 v1, s2, v22
	s_delay_alu instid0(VALU_DEP_4) | instskip(SKIP_4) | instid1(VALU_DEP_3)
	v_mov_b32_e32 v17, v19
	v_mul_u32_u24_e32 v19, 0x717, v27
	v_add_co_u32 v13, vcc_lo, v24, v13
	s_wait_alu 0xfffd
	v_add_co_ci_u32_e32 v14, vcc_lo, v26, v14, vcc_lo
	v_lshrrev_b32_e32 v24, 19, v19
	v_lshlrev_b64_e32 v[19:20], 2, v[20:21]
	v_mad_co_u64_u32 v[21:22], null, s1, v23, v[17:18]
	v_lshlrev_b64_e32 v[22:23], 2, v[1:2]
	s_delay_alu instid0(VALU_DEP_4)
	v_mul_lo_u16 v1, 0x121, v24
	v_add_nc_u32_e32 v26, 0x4a6, v0
	v_add_co_u32 v17, vcc_lo, s10, v19
	s_wait_alu 0xfffd
	v_add_co_ci_u32_e32 v28, vcc_lo, s11, v20, vcc_lo
	v_sub_nc_u16 v1, v27, v1
	v_mul_u32_u24_e32 v27, 0x717, v26
	v_add_co_u32 v20, vcc_lo, v17, v22
	v_mov_b32_e32 v19, v21
	s_wait_alu 0xfffd
	v_add_co_ci_u32_e32 v21, vcc_lo, v28, v23, vcc_lo
	v_lshrrev_b32_e32 v27, 19, v27
	v_and_b32_e32 v28, 0xffff, v1
	v_mul_lo_u32 v1, s2, v25
	v_lshlrev_b64_e32 v[17:18], 2, v[18:19]
	s_clause 0x7
	global_load_b32 v29, v[3:4], off
	global_load_b32 v30, v[5:6], off
	;; [unrolled: 1-line block ×8, first 2 shown]
	v_mul_lo_u16 v19, 0x121, v27
	v_mad_co_u64_u32 v[22:23], null, s0, v28, 0
	v_add_nc_u32_e32 v12, 0x51d, v0
	v_add_co_u32 v9, vcc_lo, s10, v17
	s_delay_alu instid0(VALU_DEP_4) | instskip(SKIP_1) | instid1(VALU_DEP_4)
	v_sub_nc_u16 v6, v26, v19
	v_lshlrev_b64_e32 v[4:5], 2, v[1:2]
	v_mul_u32_u24_e32 v1, 0x717, v12
	v_mov_b32_e32 v3, v23
	s_wait_alu 0xfffd
	v_add_co_ci_u32_e32 v10, vcc_lo, s11, v18, vcc_lo
	v_and_b32_e32 v11, 0xffff, v6
	v_add_nc_u32_e32 v13, 0x594, v0
	v_mad_co_u64_u32 v[6:7], null, s1, v28, v[3:4]
	v_lshrrev_b32_e32 v16, 19, v1
	s_delay_alu instid0(VALU_DEP_4)
	v_mad_co_u64_u32 v[7:8], null, s0, v11, 0
	v_add_co_u32 v3, vcc_lo, v9, v4
	s_wait_alu 0xfffd
	v_add_co_ci_u32_e32 v4, vcc_lo, v10, v5, vcc_lo
	v_mul_u32_u24_e32 v14, 0x717, v13
	v_mul_lo_u16 v10, 0x121, v16
	v_mov_b32_e32 v5, v8
	v_mov_b32_e32 v23, v6
	v_mul_lo_u32 v1, s2, v24
	v_lshrrev_b32_e32 v17, 19, v14
	v_add_nc_u32_e32 v19, 0x60b, v0
	v_mad_co_u64_u32 v[5:6], null, s1, v11, v[5:6]
	v_sub_nc_u16 v6, v12, v10
	v_lshlrev_b64_e32 v[8:9], 2, v[22:23]
	v_mul_lo_u16 v15, 0x121, v17
	v_add_nc_u32_e32 v21, 0x6f9, v0
	v_add_nc_u32_e32 v23, 0x770, v0
	v_and_b32_e32 v14, 0xffff, v6
	v_add_co_u32 v11, vcc_lo, s10, v8
	v_mov_b32_e32 v8, v5
	v_sub_nc_u16 v13, v13, v15
	s_wait_alu 0xfffd
	v_add_co_ci_u32_e32 v12, vcc_lo, s11, v9, vcc_lo
	v_lshlrev_b64_e32 v[9:10], 2, v[1:2]
	v_mad_co_u64_u32 v[5:6], null, s0, v14, 0
	v_mul_lo_u32 v1, s2, v27
	v_lshlrev_b64_e32 v[7:8], 2, v[7:8]
	v_and_b32_e32 v18, 0xffff, v13
	v_add_co_u32 v9, vcc_lo, v11, v9
	s_wait_alu 0xfffd
	v_add_co_ci_u32_e32 v10, vcc_lo, v12, v10, vcc_lo
	s_delay_alu instid0(VALU_DEP_4) | instskip(SKIP_4) | instid1(VALU_DEP_3)
	v_mad_co_u64_u32 v[13:14], null, s1, v14, v[6:7]
	v_lshlrev_b64_e32 v[11:12], 2, v[1:2]
	v_mul_u32_u24_e32 v1, 0x717, v19
	v_mad_co_u64_u32 v[14:15], null, s0, v18, 0
	v_add_co_u32 v7, vcc_lo, s10, v7
	v_lshrrev_b32_e32 v20, 19, v1
	s_wait_alu 0xfffd
	v_add_co_ci_u32_e32 v8, vcc_lo, s11, v8, vcc_lo
	v_mov_b32_e32 v6, v13
	v_add_co_u32 v7, vcc_lo, v7, v11
	v_mov_b32_e32 v11, v15
	v_mul_lo_u16 v13, 0x121, v20
	s_delay_alu instid0(VALU_DEP_4)
	v_lshlrev_b64_e32 v[5:6], 2, v[5:6]
	v_mul_lo_u32 v1, s2, v16
	s_wait_alu 0xfffd
	v_add_co_ci_u32_e32 v8, vcc_lo, v8, v12, vcc_lo
	v_mad_co_u64_u32 v[11:12], null, s1, v18, v[11:12]
	v_sub_nc_u16 v12, v19, v13
	v_add_nc_u32_e32 v19, 0x682, v0
	v_add_co_u32 v13, vcc_lo, s10, v5
	s_wait_alu 0xfffd
	v_add_co_ci_u32_e32 v16, vcc_lo, s11, v6, vcc_lo
	v_and_b32_e32 v18, 0xffff, v12
	v_lshlrev_b64_e32 v[5:6], 2, v[1:2]
	v_mov_b32_e32 v15, v11
	v_mul_u32_u24_e32 v1, 0x717, v19
	v_mul_u32_u24_e32 v22, 0x717, v21
	v_mad_co_u64_u32 v[11:12], null, s0, v18, 0
	v_add_co_u32 v5, vcc_lo, v13, v5
	s_delay_alu instid0(VALU_DEP_4)
	v_lshrrev_b32_e32 v24, 19, v1
	v_lshlrev_b64_e32 v[13:14], 2, v[14:15]
	v_mul_lo_u32 v1, s2, v17
	s_wait_alu 0xfffd
	v_add_co_ci_u32_e32 v6, vcc_lo, v16, v6, vcc_lo
	v_mul_lo_u16 v17, 0x121, v24
	v_lshrrev_b32_e32 v28, 19, v22
	v_mad_co_u64_u32 v[15:16], null, s1, v18, v[12:13]
	v_mul_u32_u24_e32 v16, 0x717, v23
	s_delay_alu instid0(VALU_DEP_4)
	v_sub_nc_u16 v12, v19, v17
	v_add_co_u32 v17, vcc_lo, s10, v13
	s_wait_alu 0xfffd
	v_add_co_ci_u32_e32 v18, vcc_lo, s11, v14, vcc_lo
	v_lshlrev_b64_e32 v[13:14], 2, v[1:2]
	v_mul_lo_u16 v1, 0x121, v28
	v_lshrrev_b32_e32 v37, 19, v16
	v_dual_mov_b32 v12, v15 :: v_dual_and_b32 v19, 0xffff, v12
	s_delay_alu instid0(VALU_DEP_3) | instskip(NEXT) | instid1(VALU_DEP_3)
	v_sub_nc_u16 v21, v21, v1
	v_mul_lo_u16 v1, 0x121, v37
	v_add_co_u32 v13, vcc_lo, v17, v13
	s_delay_alu instid0(VALU_DEP_4) | instskip(NEXT) | instid1(VALU_DEP_3)
	v_mad_co_u64_u32 v[15:16], null, s0, v19, 0
	v_sub_nc_u16 v17, v23, v1
	v_and_b32_e32 v25, 0xffff, v21
	s_wait_alu 0xfffd
	v_add_co_ci_u32_e32 v14, vcc_lo, v18, v14, vcc_lo
	v_lshlrev_b64_e32 v[11:12], 2, v[11:12]
	v_and_b32_e32 v26, 0xffff, v17
	v_mad_co_u64_u32 v[17:18], null, s0, v25, 0
	v_mul_lo_u32 v1, s2, v20
	s_delay_alu instid0(VALU_DEP_4) | instskip(SKIP_2) | instid1(VALU_DEP_4)
	v_add_co_u32 v27, vcc_lo, s10, v11
	s_wait_alu 0xfffd
	v_add_co_ci_u32_e32 v38, vcc_lo, s11, v12, vcc_lo
	v_mov_b32_e32 v11, v18
	v_mad_co_u64_u32 v[19:20], null, s1, v19, v[16:17]
	v_mad_co_u64_u32 v[20:21], null, s0, v26, 0
	v_lshlrev_b64_e32 v[22:23], 2, v[1:2]
	s_delay_alu instid0(VALU_DEP_4) | instskip(SKIP_4) | instid1(VALU_DEP_3)
	v_mad_co_u64_u32 v[11:12], null, s1, v25, v[11:12]
	v_mul_lo_u32 v1, s2, v24
	v_mov_b32_e32 v16, v19
	v_mov_b32_e32 v12, v21
	v_add_co_u32 v22, vcc_lo, v27, v22
	v_lshlrev_b64_e32 v[15:16], 2, v[15:16]
	v_mov_b32_e32 v18, v11
	s_delay_alu instid0(VALU_DEP_4)
	v_mad_co_u64_u32 v[26:27], null, s1, v26, v[12:13]
	v_lshlrev_b64_e32 v[24:25], 2, v[1:2]
	v_mul_lo_u32 v1, s2, v28
	s_wait_alu 0xfffd
	v_add_co_ci_u32_e32 v23, vcc_lo, v38, v23, vcc_lo
	v_add_co_u32 v15, vcc_lo, s10, v15
	v_mov_b32_e32 v21, v26
	s_wait_alu 0xfffd
	v_add_co_ci_u32_e32 v16, vcc_lo, s11, v16, vcc_lo
	v_lshlrev_b64_e32 v[11:12], 2, v[17:18]
	v_lshlrev_b64_e32 v[17:18], 2, v[1:2]
	v_mul_lo_u32 v1, s2, v37
	v_add_co_u32 v15, vcc_lo, v15, v24
	v_lshlrev_b64_e32 v[19:20], 2, v[20:21]
	s_wait_alu 0xfffd
	v_add_co_ci_u32_e32 v16, vcc_lo, v16, v25, vcc_lo
	v_add_co_u32 v21, vcc_lo, s10, v11
	s_wait_alu 0xfffd
	v_add_co_ci_u32_e32 v24, vcc_lo, s11, v12, vcc_lo
	v_add_co_u32 v19, vcc_lo, s10, v19
	v_lshlrev_b64_e32 v[11:12], 2, v[1:2]
	s_wait_alu 0xfffd
	v_add_co_ci_u32_e32 v20, vcc_lo, s11, v20, vcc_lo
	v_add_co_u32 v17, vcc_lo, v21, v17
	s_wait_alu 0xfffd
	v_add_co_ci_u32_e32 v18, vcc_lo, v24, v18, vcc_lo
	v_add_co_u32 v11, vcc_lo, v19, v11
	s_wait_alu 0xfffd
	v_add_co_ci_u32_e32 v12, vcc_lo, v20, v12, vcc_lo
	s_clause 0x8
	global_load_b32 v1, v[3:4], off
	global_load_b32 v3, v[9:10], off
	;; [unrolled: 1-line block ×9, first 2 shown]
	v_mul_u32_u24_e32 v11, 0xf10, v0
	s_add_nc_u64 s[10:11], s[20:21], s[18:19]
	s_clause 0x2
	s_load_b128 s[0:3], s[20:21], 0x0
	s_load_b32 s12, s[20:21], 0x10
	s_load_b64 s[10:11], s[10:11], 0x0
	v_lshrrev_b32_e32 v11, 16, v11
	s_delay_alu instid0(VALU_DEP_1) | instskip(SKIP_1) | instid1(VALU_DEP_2)
	v_add_nc_u32_e32 v12, s6, v11
	v_mul_lo_u16 v11, v11, 17
	v_mul_hi_u32 v13, 0x24924925, v12
	s_delay_alu instid0(VALU_DEP_2) | instskip(SKIP_3) | instid1(VALU_DEP_2)
	v_sub_nc_u16 v11, v0, v11
	s_wait_kmcnt 0x0
	s_mul_i32 s8, s22, s2
	s_mul_u64 s[2:3], s[0:1], s[6:7]
	v_sub_nc_u32_e32 v14, v12, v13
	s_delay_alu instid0(VALU_DEP_1) | instskip(NEXT) | instid1(VALU_DEP_1)
	v_lshrrev_b32_e32 v14, 1, v14
	v_add_nc_u32_e32 v13, v14, v13
	v_lshl_add_u32 v14, v0, 2, 0
	s_delay_alu instid0(VALU_DEP_2) | instskip(NEXT) | instid1(VALU_DEP_2)
	v_lshrrev_b32_e32 v13, 2, v13
	v_add_nc_u32_e32 v15, 0x200, v14
	v_add_nc_u32_e32 v16, 0x600, v14
	;; [unrolled: 1-line block ×4, first 2 shown]
	v_mul_lo_u32 v13, v13, 7
	v_add_nc_u32_e32 v19, 0x1200, v14
	v_add_nc_u32_e32 v20, 0x1600, v14
	;; [unrolled: 1-line block ×3, first 2 shown]
	s_wait_loadcnt 0xf
	ds_store_2addr_b32 v14, v29, v30 offset1:119
	s_wait_loadcnt 0xd
	ds_store_2addr_b32 v15, v31, v32 offset0:110 offset1:229
	s_wait_loadcnt 0xb
	ds_store_2addr_b32 v16, v33, v34 offset0:92 offset1:211
	;; [unrolled: 2-line block ×6, first 2 shown]
	v_sub_nc_u32_e32 v12, v12, v13
	v_and_b32_e32 v13, 0xffff, v11
	s_wait_loadcnt 0x1
	ds_store_2addr_b32 v21, v8, v9 offset0:130 offset1:249
	s_wait_loadcnt 0x0
	ds_store_b32 v14, v10 offset:7616
	global_wb scope:SCOPE_SE
	s_wait_dscnt 0x0
	v_mul_u32_u24_e32 v11, 0x121, v12
	v_lshlrev_b32_e32 v12, 2, v13
	s_barrier_signal -1
	s_barrier_wait -1
	global_inv scope:SCOPE_SE
	v_lshlrev_b32_e32 v11, 2, v11
	s_delay_alu instid0(VALU_DEP_1) | instskip(SKIP_1) | instid1(VALU_DEP_2)
	v_add_nc_u32_e32 v3, 0, v11
	v_add3_u32 v1, 0, v12, v11
	v_add_nc_u32_e32 v11, v3, v12
	s_delay_alu instid0(VALU_DEP_2)
	v_add_nc_u32_e32 v12, 0x200, v1
	ds_load_b32 v23, v11
	ds_load_2addr_b32 v[15:16], v1 offset0:17 offset1:34
	ds_load_2addr_b32 v[17:18], v12 offset0:127 offset1:144
	;; [unrolled: 1-line block ×3, first 2 shown]
	v_mad_u32_u24 v14, 0x44, v13, v3
	ds_load_2addr_b32 v[7:8], v1 offset0:85 offset1:102
	ds_load_2addr_b32 v[3:4], v1 offset0:119 offset1:136
	;; [unrolled: 1-line block ×4, first 2 shown]
	s_wait_dscnt 0x7
	v_lshrrev_b32_e32 v28, 16, v23
	s_wait_dscnt 0x6
	v_pk_add_f16 v21, v15, v23
	s_wait_dscnt 0x5
	v_pk_add_f16 v24, v15, v18 neg_lo:[0,1] neg_hi:[0,1]
	v_pk_add_f16 v25, v18, v15
	v_pk_add_f16 v54, v16, v17 neg_lo:[0,1] neg_hi:[0,1]
	v_pk_add_f16 v15, v21, v16
	ds_load_2addr_b32 v[21:22], v1 offset0:221 offset1:238
	v_lshrrev_b32_e32 v27, 16, v25
	v_lshrrev_b32_e32 v26, 16, v24
	v_pk_add_f16 v16, v17, v16
	s_wait_dscnt 0x5
	v_pk_add_f16 v15, v15, v19
	v_pk_mul_f16 v55, 0xb1e1, v24 op_sel_hi:[0,1]
	v_mul_f16_e32 v30, 0x3b76, v27
	v_mul_f16_e32 v32, 0x39e9, v27
	;; [unrolled: 1-line block ×3, first 2 shown]
	v_pk_add_f16 v15, v15, v20
	v_mul_f16_e32 v36, 0x2de8, v27
	v_mul_f16_e32 v38, 0xb461, v27
	;; [unrolled: 1-line block ×4, first 2 shown]
	s_wait_dscnt 0x4
	v_pk_add_f16 v15, v15, v7
	v_mul_f16_e32 v39, 0xba62, v26
	v_mul_f16_e32 v29, 0xb5c8, v26
	;; [unrolled: 1-line block ×3, first 2 shown]
	v_fmamk_f16 v53, v24, 0x3836, v27
	v_pk_add_f16 v15, v15, v8
	v_mul_f16_e32 v33, 0xbb29, v26
	v_mul_f16_e32 v35, 0xbbf7, v26
	;; [unrolled: 1-line block ×3, first 2 shown]
	v_fmamk_f16 v50, v24, 0x3bb2, v38
	s_wait_dscnt 0x3
	v_pk_add_f16 v15, v15, v3
	v_fmac_f16_e32 v38, 0xbbb2, v24
	v_fmamk_f16 v51, v25, 0xb8d2, v39
	v_mul_f16_e32 v26, 0xb836, v26
	v_lshrrev_b32_e32 v56, 16, v16
	v_pk_add_f16 v15, v15, v4
	v_fmamk_f16 v41, v25, 0x3b76, v29
	v_fmamk_f16 v42, v24, 0x35c8, v30
	v_fma_f16 v29, v25, 0x3b76, -v29
	v_fmac_f16_e32 v30, 0xb5c8, v24
	s_wait_dscnt 0x2
	v_pk_add_f16 v15, v15, v5
	v_fmamk_f16 v43, v25, 0x39e9, v31
	v_fmamk_f16 v44, v24, 0x3964, v32
	v_fma_f16 v31, v25, 0x39e9, -v31
	v_fmac_f16_e32 v32, 0xb964, v24
	v_pk_add_f16 v15, v15, v6
	v_fmamk_f16 v45, v25, 0x3722, v33
	v_fmamk_f16 v46, v24, 0x3b29, v34
	v_fma_f16 v33, v25, 0x3722, -v33
	v_fmac_f16_e32 v34, 0xbb29, v24
	s_wait_dscnt 0x1
	v_pk_add_f16 v15, v15, v9
	v_fmamk_f16 v47, v25, 0x2de8, v35
	v_fmamk_f16 v48, v24, 0x3bf7, v36
	v_fma_f16 v35, v25, 0x2de8, -v35
	v_fmac_f16_e32 v36, 0xbbf7, v24
	v_pk_add_f16 v15, v15, v10
	v_fmamk_f16 v49, v25, 0xb461, v37
	v_fma_f16 v37, v25, 0xb461, -v37
	v_fma_f16 v39, v25, 0xb8d2, -v39
	v_fmamk_f16 v52, v25, 0xbacd, v26
	s_wait_dscnt 0x0
	v_pk_add_f16 v15, v15, v21
	v_fma_f16 v26, v25, 0xbacd, -v26
	v_fmac_f16_e32 v27, 0xb836, v24
	v_pk_fma_f16 v57, 0xbbdd, v25, v55 op_sel:[0,0,1] op_sel_hi:[0,1,0]
	v_pk_fma_f16 v25, 0xbbdd, v25, v55 op_sel:[0,0,1] op_sel_hi:[0,1,0] neg_lo:[0,0,1] neg_hi:[0,0,1]
	v_pk_add_f16 v15, v15, v22
	v_mul_f16_e32 v55, 0x39e9, v56
	v_add_f16_e32 v41, v41, v23
	v_add_f16_e32 v42, v42, v28
	;; [unrolled: 1-line block ×3, first 2 shown]
	v_pk_add_f16 v15, v15, v17
	v_add_f16_e32 v17, v53, v28
	v_lshrrev_b32_e32 v53, 16, v54
	v_add_f16_e32 v30, v30, v28
	v_add_f16_e32 v43, v43, v23
	v_pk_add_f16 v15, v15, v18
	v_add_f16_e32 v18, v38, v28
	v_add_f16_e32 v38, v51, v23
	v_fmamk_f16 v51, v24, 0x3a62, v40
	v_fmac_f16_e32 v40, 0xba62, v24
	v_mul_f16_e32 v24, 0xb964, v53
	v_add_f16_e32 v44, v44, v28
	v_add_f16_e32 v31, v31, v23
	;; [unrolled: 1-line block ×20, first 2 shown]
	v_fmamk_f16 v28, v16, 0x39e9, v24
	v_pk_add_f16 v57, v57, v23
	v_pk_add_f16 v23, v25, v23
	v_fmamk_f16 v25, v54, 0x3964, v55
	v_mul_f16_e32 v58, 0xbbf7, v53
	v_fma_f16 v24, v16, 0x39e9, -v24
	v_fmac_f16_e32 v55, 0xb964, v54
	v_add_f16_e32 v28, v28, v41
	v_add_f16_e32 v25, v25, v42
	v_fmamk_f16 v41, v16, 0x2de8, v58
	v_mul_f16_e32 v42, 0x2de8, v56
	v_add_f16_e32 v24, v24, v29
	v_add_f16_e32 v29, v55, v30
	v_mul_f16_e32 v30, 0xba62, v53
	v_add_f16_e32 v41, v41, v43
	v_fmamk_f16 v43, v54, 0x3bf7, v42
	v_fma_f16 v55, v16, 0x2de8, -v58
	v_fmac_f16_e32 v42, 0xbbf7, v54
	v_fmamk_f16 v58, v16, 0xb8d2, v30
	v_mul_f16_e32 v59, 0xb8d2, v56
	v_add_f16_e32 v43, v43, v44
	v_add_f16_e32 v31, v55, v31
	v_add_f16_e32 v32, v42, v32
	v_add_f16_e32 v42, v58, v45
	v_fmamk_f16 v44, v54, 0x3a62, v59
	v_mul_f16_e32 v45, 0xb1e1, v53
	v_fma_f16 v30, v16, 0xb8d2, -v30
	v_fmac_f16_e32 v59, 0xba62, v54
	v_mul_f16_e32 v55, 0xbbdd, v56
	v_add_f16_e32 v44, v44, v46
	v_fmamk_f16 v46, v16, 0xbbdd, v45
	v_add_f16_e32 v30, v30, v33
	v_add_f16_e32 v33, v59, v34
	v_fmamk_f16 v34, v54, 0x31e1, v55
	v_mul_f16_e32 v58, 0x3836, v53
	v_add_f16_e32 v46, v46, v47
	v_fma_f16 v45, v16, 0xbbdd, -v45
	v_fmac_f16_e32 v55, 0xb1e1, v54
	v_add_f16_e32 v34, v34, v48
	v_fmamk_f16 v47, v16, 0xbacd, v58
	v_mul_f16_e32 v48, 0xbacd, v56
	v_add_f16_e32 v35, v45, v35
	v_mul_f16_e32 v45, 0x3bb2, v53
	v_mul_f16_e32 v59, 0xb461, v56
	v_add_f16_e32 v47, v47, v49
	v_fmamk_f16 v49, v54, 0xb836, v48
	v_fmac_f16_e32 v48, 0x3836, v54
	v_add_f16_e32 v36, v55, v36
	v_fma_f16 v55, v16, 0xbacd, -v58
	v_fmamk_f16 v58, v16, 0xb461, v45
	v_add_f16_e32 v49, v49, v50
	v_add_f16_e32 v18, v48, v18
	v_fmamk_f16 v48, v54, 0xbbb2, v59
	v_mul_f16_e32 v50, 0x3b29, v53
	v_fma_f16 v45, v16, 0xb461, -v45
	v_mul_f16_e32 v53, 0x3722, v56
	v_add_f16_e32 v37, v55, v37
	v_add_f16_e32 v48, v48, v51
	v_fmamk_f16 v51, v16, 0x3722, v50
	v_add_f16_e32 v39, v45, v39
	v_fmamk_f16 v45, v54, 0xbb29, v53
	v_pk_add_f16 v55, v19, v22 neg_lo:[0,1] neg_hi:[0,1]
	v_fma_f16 v50, v16, 0x3722, -v50
	v_pk_add_f16 v19, v22, v19
	v_fmac_f16_e32 v59, 0x3bb2, v54
	v_add_f16_e32 v17, v45, v17
	v_lshrrev_b32_e32 v22, 16, v55
	v_pk_mul_f16 v45, 0x35c8, v54 op_sel_hi:[0,1]
	v_add_f16_e32 v26, v50, v26
	v_lshrrev_b32_e32 v50, 16, v19
	v_add_f16_e32 v51, v51, v52
	v_fmac_f16_e32 v53, 0x3b29, v54
	v_mul_f16_e32 v52, 0xbb29, v22
	v_pk_fma_f16 v54, 0x3b76, v16, v45 op_sel:[0,0,1] op_sel_hi:[0,1,0]
	v_pk_fma_f16 v16, 0x3b76, v16, v45 op_sel:[0,0,1] op_sel_hi:[0,1,0] neg_lo:[0,0,1] neg_hi:[0,0,1]
	v_mul_f16_e32 v45, 0x3722, v50
	v_add_f16_e32 v27, v53, v27
	v_fmamk_f16 v53, v19, 0x3722, v52
	v_mul_f16_e32 v56, 0xba62, v22
	v_pk_add_f16 v16, v16, v23
	v_fmamk_f16 v23, v55, 0x3b29, v45
	v_fma_f16 v52, v19, 0x3722, -v52
	v_add_f16_e32 v28, v53, v28
	v_fmac_f16_e32 v45, 0xbb29, v55
	v_mul_f16_e32 v53, 0xb8d2, v50
	v_add_f16_e32 v23, v23, v25
	v_fmamk_f16 v25, v19, 0xb8d2, v56
	v_pk_add_f16 v54, v54, v57
	v_add_f16_e32 v24, v52, v24
	v_add_f16_e32 v29, v45, v29
	v_mul_f16_e32 v45, 0x31e1, v22
	v_add_f16_e32 v25, v25, v41
	v_fmamk_f16 v41, v55, 0x3a62, v53
	v_fma_f16 v52, v19, 0xb8d2, -v56
	v_fmac_f16_e32 v53, 0xba62, v55
	v_mul_f16_e32 v57, 0xbbdd, v50
	v_fmamk_f16 v56, v19, 0xbbdd, v45
	v_add_f16_e32 v41, v41, v43
	v_add_f16_e32 v31, v52, v31
	;; [unrolled: 1-line block ×3, first 2 shown]
	v_fmamk_f16 v43, v55, 0xb1e1, v57
	v_mul_f16_e32 v52, 0x3bb2, v22
	v_fma_f16 v45, v19, 0xbbdd, -v45
	v_mul_f16_e32 v53, 0xb461, v50
	v_add_f16_e32 v42, v56, v42
	v_add_f16_e32 v43, v43, v44
	v_fmamk_f16 v44, v19, 0xb461, v52
	v_add_f16_e32 v30, v45, v30
	v_fmamk_f16 v45, v55, 0xbbb2, v53
	v_mul_f16_e32 v56, 0x3964, v22
	v_fmac_f16_e32 v57, 0x31e1, v55
	v_add_f16_e32 v44, v44, v46
	v_fma_f16 v46, v19, 0xb461, -v52
	v_add_f16_e32 v34, v45, v34
	v_fmamk_f16 v45, v19, 0x39e9, v56
	v_mul_f16_e32 v52, 0x39e9, v50
	v_add_f16_e32 v33, v57, v33
	v_fmac_f16_e32 v53, 0x3bb2, v55
	v_add_f16_e32 v35, v46, v35
	v_mul_f16_e32 v46, 0xb5c8, v22
	v_add_f16_e32 v45, v45, v47
	v_fmamk_f16 v47, v55, 0xb964, v52
	v_mul_f16_e32 v57, 0x3b76, v50
	v_add_f16_e32 v36, v53, v36
	v_fma_f16 v53, v19, 0x39e9, -v56
	v_fmac_f16_e32 v52, 0x3964, v55
	v_fmamk_f16 v56, v19, 0x3b76, v46
	v_add_f16_e32 v47, v47, v49
	v_fmamk_f16 v49, v55, 0x35c8, v57
	v_mul_f16_e32 v22, 0xbbf7, v22
	v_fma_f16 v46, v19, 0x3b76, -v46
	v_mul_f16_e32 v50, 0x2de8, v50
	v_add_f16_e32 v18, v52, v18
	v_add_f16_e32 v48, v49, v48
	v_fmamk_f16 v49, v19, 0x2de8, v22
	v_add_f16_e32 v39, v46, v39
	v_fmamk_f16 v46, v55, 0x3bf7, v50
	v_pk_add_f16 v52, v20, v21 neg_lo:[0,1] neg_hi:[0,1]
	v_fma_f16 v22, v19, 0x2de8, -v22
	v_pk_add_f16 v20, v21, v20
	v_add_f16_e32 v37, v53, v37
	v_add_f16_e32 v17, v46, v17
	v_lshrrev_b32_e32 v21, 16, v52
	v_pk_mul_f16 v46, 0xb836, v55 op_sel_hi:[0,1]
	v_add_f16_e32 v22, v22, v26
	v_lshrrev_b32_e32 v26, 16, v20
	v_add_f16_e32 v49, v49, v51
	v_fmac_f16_e32 v50, 0xbbf7, v55
	v_mul_f16_e32 v51, 0xbbf7, v21
	v_pk_fma_f16 v53, 0xbacd, v19, v46 op_sel:[0,0,1] op_sel_hi:[0,1,0]
	v_pk_fma_f16 v19, 0xbacd, v19, v46 op_sel:[0,0,1] op_sel_hi:[0,1,0] neg_lo:[0,0,1] neg_hi:[0,0,1]
	v_mul_f16_e32 v46, 0x2de8, v26
	v_add_f16_e32 v27, v50, v27
	v_fmamk_f16 v50, v20, 0x2de8, v51
	v_pk_add_f16 v53, v53, v54
	v_pk_add_f16 v16, v19, v16
	v_fmamk_f16 v19, v52, 0x3bf7, v46
	v_mul_f16_e32 v54, 0xb1e1, v21
	v_fmac_f16_e32 v46, 0xbbf7, v52
	v_add_f16_e32 v28, v50, v28
	v_fma_f16 v50, v20, 0x2de8, -v51
	v_add_f16_e32 v19, v19, v23
	v_fmamk_f16 v23, v20, 0xbbdd, v54
	v_mul_f16_e32 v51, 0xbbdd, v26
	v_add_f16_e32 v29, v46, v29
	v_mul_f16_e32 v46, 0x3bb2, v21
	v_fmac_f16_e32 v57, 0xb5c8, v55
	v_add_f16_e32 v24, v50, v24
	v_add_f16_e32 v23, v23, v25
	v_fmamk_f16 v25, v52, 0x31e1, v51
	v_fma_f16 v50, v20, 0xbbdd, -v54
	v_fmamk_f16 v54, v20, 0xb461, v46
	v_mul_f16_e32 v55, 0xb461, v26
	v_fmac_f16_e32 v51, 0xb1e1, v52
	v_add_f16_e32 v25, v25, v41
	v_add_f16_e32 v31, v50, v31
	;; [unrolled: 1-line block ×3, first 2 shown]
	v_fmamk_f16 v42, v52, 0xbbb2, v55
	v_mul_f16_e32 v50, 0x35c8, v21
	v_add_f16_e32 v32, v51, v32
	v_fma_f16 v46, v20, 0xb461, -v46
	v_mul_f16_e32 v51, 0x3b76, v26
	v_add_f16_e32 v42, v42, v43
	v_fmamk_f16 v43, v20, 0x3b76, v50
	v_mul_f16_e32 v54, 0xbb29, v21
	v_add_f16_e32 v30, v46, v30
	v_fmamk_f16 v46, v52, 0xb5c8, v51
	v_fmac_f16_e32 v55, 0x3bb2, v52
	v_add_f16_e32 v43, v43, v44
	v_fma_f16 v44, v20, 0x3b76, -v50
	v_fmac_f16_e32 v51, 0x35c8, v52
	v_add_f16_e32 v34, v46, v34
	v_fmamk_f16 v46, v20, 0x3722, v54
	v_mul_f16_e32 v50, 0x3722, v26
	v_add_f16_e32 v35, v44, v35
	v_mul_f16_e32 v44, 0xb836, v21
	v_add_f16_e32 v33, v55, v33
	v_add_f16_e32 v36, v51, v36
	;; [unrolled: 1-line block ×3, first 2 shown]
	v_fmamk_f16 v46, v52, 0x3b29, v50
	v_fma_f16 v51, v20, 0x3722, -v54
	v_fmac_f16_e32 v50, 0xbb29, v52
	v_fmamk_f16 v54, v20, 0xbacd, v44
	v_mul_f16_e32 v55, 0xbacd, v26
	v_fma_f16 v44, v20, 0xbacd, -v44
	v_mul_f16_e32 v26, 0xb8d2, v26
	v_add_f16_e32 v46, v46, v47
	v_add_f16_e32 v18, v50, v18
	v_fmamk_f16 v47, v52, 0x3836, v55
	v_mul_f16_e32 v21, 0x3a62, v21
	v_add_f16_e32 v39, v44, v39
	v_fmamk_f16 v44, v52, 0xba62, v26
	v_pk_add_f16 v50, v7, v10 neg_lo:[0,1] neg_hi:[0,1]
	v_add_f16_e32 v47, v47, v48
	v_fmamk_f16 v48, v20, 0xb8d2, v21
	v_fma_f16 v21, v20, 0xb8d2, -v21
	v_pk_add_f16 v7, v10, v7
	v_add_f16_e32 v10, v44, v17
	v_lshrrev_b32_e32 v17, 16, v50
	v_add_f16_e32 v48, v48, v49
	v_pk_mul_f16 v44, 0x3964, v52 op_sel_hi:[0,1]
	v_add_f16_e32 v21, v21, v22
	v_lshrrev_b32_e32 v22, 16, v7
	v_fmac_f16_e32 v26, 0x3a62, v52
	v_mul_f16_e32 v49, 0xbbb2, v17
	v_add_f16_e32 v37, v51, v37
	v_pk_fma_f16 v51, 0x39e9, v20, v44 op_sel:[0,0,1] op_sel_hi:[0,1,0]
	v_pk_fma_f16 v20, 0x39e9, v20, v44 op_sel:[0,0,1] op_sel_hi:[0,1,0] neg_lo:[0,0,1] neg_hi:[0,0,1]
	v_mul_f16_e32 v44, 0xb461, v22
	v_add_f16_e32 v26, v26, v27
	v_fmamk_f16 v27, v7, 0xb461, v49
	v_fmac_f16_e32 v55, 0xb836, v52
	v_pk_add_f16 v16, v20, v16
	v_fmamk_f16 v20, v50, 0x3bb2, v44
	v_mul_f16_e32 v52, 0x3836, v17
	v_add_f16_e32 v27, v27, v28
	v_fma_f16 v28, v7, 0xb461, -v49
	v_fmac_f16_e32 v44, 0xbbb2, v50
	v_add_f16_e32 v19, v20, v19
	v_fmamk_f16 v20, v7, 0xbacd, v52
	v_mul_f16_e32 v49, 0xbacd, v22
	v_add_f16_e32 v24, v28, v24
	v_add_f16_e32 v28, v44, v29
	v_mul_f16_e32 v29, 0x3964, v17
	v_pk_add_f16 v51, v51, v53
	v_add_f16_e32 v20, v20, v23
	v_fmamk_f16 v23, v50, 0xb836, v49
	v_fma_f16 v44, v7, 0xbacd, -v52
	v_fmac_f16_e32 v49, 0x3836, v50
	v_fmamk_f16 v52, v7, 0x39e9, v29
	v_mul_f16_e32 v53, 0x39e9, v22
	v_add_f16_e32 v23, v23, v25
	v_add_f16_e32 v25, v44, v31
	;; [unrolled: 1-line block ×4, first 2 shown]
	v_fmamk_f16 v41, v50, 0xb964, v53
	v_mul_f16_e32 v44, 0xbb29, v17
	v_fma_f16 v29, v7, 0x39e9, -v29
	v_fmac_f16_e32 v53, 0x3964, v50
	v_mul_f16_e32 v49, 0x3722, v22
	v_add_f16_e32 v41, v41, v42
	v_fmamk_f16 v42, v7, 0x3722, v44
	v_add_f16_e32 v29, v29, v30
	v_add_f16_e32 v30, v53, v33
	v_fmamk_f16 v33, v50, 0x3b29, v49
	v_mul_f16_e32 v52, 0xb1e1, v17
	v_add_f16_e32 v42, v42, v43
	v_fma_f16 v43, v7, 0x3722, -v44
	v_mul_f16_e32 v44, 0xbbdd, v22
	v_add_f16_e32 v33, v33, v34
	v_fmamk_f16 v34, v7, 0xbbdd, v52
	v_fmac_f16_e32 v49, 0xbb29, v50
	v_add_f16_e32 v35, v43, v35
	v_mul_f16_e32 v43, 0x3bf7, v17
	v_mul_f16_e32 v53, 0x2de8, v22
	v_add_f16_e32 v34, v34, v45
	v_fmamk_f16 v45, v50, 0x31e1, v44
	v_fmac_f16_e32 v44, 0xb1e1, v50
	v_add_f16_e32 v36, v49, v36
	v_fma_f16 v49, v7, 0xbbdd, -v52
	v_fmamk_f16 v52, v7, 0x2de8, v43
	v_fma_f16 v43, v7, 0x2de8, -v43
	v_add_f16_e32 v18, v44, v18
	v_fmamk_f16 v44, v50, 0xbbf7, v53
	v_mul_f16_e32 v22, 0x3b76, v22
	v_mul_f16_e32 v17, 0xb5c8, v17
	v_add_f16_e32 v39, v43, v39
	v_add_f16_e32 v45, v45, v46
	;; [unrolled: 1-line block ×3, first 2 shown]
	v_fmamk_f16 v43, v50, 0x35c8, v22
	v_pk_add_f16 v47, v8, v9 neg_lo:[0,1] neg_hi:[0,1]
	v_fmamk_f16 v46, v7, 0x3b76, v17
	v_fma_f16 v17, v7, 0x3b76, -v17
	v_pk_add_f16 v8, v9, v8
	v_add_f16_e32 v9, v43, v10
	v_lshrrev_b32_e32 v10, 16, v47
	v_add_f16_e32 v46, v46, v48
	v_pk_mul_f16 v43, 0xba62, v50 op_sel_hi:[0,1]
	v_add_f16_e32 v17, v17, v21
	v_lshrrev_b32_e32 v21, 16, v8
	v_fmac_f16_e32 v22, 0xb5c8, v50
	v_mul_f16_e32 v48, 0xba62, v10
	v_add_f16_e32 v37, v49, v37
	v_pk_fma_f16 v49, 0xb8d2, v7, v43 op_sel:[0,0,1] op_sel_hi:[0,1,0]
	v_pk_fma_f16 v7, 0xb8d2, v7, v43 op_sel:[0,0,1] op_sel_hi:[0,1,0] neg_lo:[0,0,1] neg_hi:[0,0,1]
	v_mul_f16_e32 v43, 0xb8d2, v21
	v_add_f16_e32 v22, v22, v26
	v_fmamk_f16 v26, v8, 0xb8d2, v48
	v_fmac_f16_e32 v53, 0x3bf7, v50
	v_pk_add_f16 v7, v7, v16
	v_fmamk_f16 v16, v47, 0x3a62, v43
	v_mul_f16_e32 v50, 0x3bb2, v10
	v_add_f16_e32 v26, v26, v27
	v_fma_f16 v27, v8, 0xb8d2, -v48
	v_fmac_f16_e32 v43, 0xba62, v47
	v_add_f16_e32 v16, v16, v19
	v_fmamk_f16 v19, v8, 0xb461, v50
	v_mul_f16_e32 v48, 0xb461, v21
	v_add_f16_e32 v24, v27, v24
	v_add_f16_e32 v27, v43, v28
	v_mul_f16_e32 v28, 0xb5c8, v10
	v_pk_add_f16 v49, v49, v51
	v_add_f16_e32 v19, v19, v20
	v_fmamk_f16 v20, v47, 0xbbb2, v48
	v_fma_f16 v43, v8, 0xb461, -v50
	v_fmac_f16_e32 v48, 0x3bb2, v47
	v_fmamk_f16 v50, v8, 0x3b76, v28
	v_mul_f16_e32 v51, 0x3b76, v21
	v_add_f16_e32 v20, v20, v23
	v_add_f16_e32 v23, v43, v25
	;; [unrolled: 1-line block ×4, first 2 shown]
	v_fmamk_f16 v32, v47, 0x35c8, v51
	v_mul_f16_e32 v43, 0xb836, v10
	v_fma_f16 v28, v8, 0x3b76, -v28
	v_fmac_f16_e32 v51, 0xb5c8, v47
	v_mul_f16_e32 v48, 0xbacd, v21
	v_add_f16_e32 v32, v32, v41
	v_fmamk_f16 v41, v8, 0xbacd, v43
	v_add_f16_e32 v28, v28, v29
	v_add_f16_e32 v29, v51, v30
	v_fmamk_f16 v30, v47, 0x3836, v48
	v_mul_f16_e32 v50, 0x3bf7, v10
	v_add_f16_e32 v41, v41, v42
	v_fma_f16 v42, v8, 0xbacd, -v43
	v_mul_f16_e32 v43, 0x2de8, v21
	v_add_f16_e32 v30, v30, v33
	v_fmamk_f16 v33, v8, 0x2de8, v50
	v_fmac_f16_e32 v48, 0xb836, v47
	v_add_f16_e32 v35, v42, v35
	v_mul_f16_e32 v42, 0xb964, v10
	v_mul_f16_e32 v51, 0x39e9, v21
	v_add_f16_e32 v33, v33, v34
	v_fmamk_f16 v34, v47, 0xbbf7, v43
	v_fmac_f16_e32 v43, 0x3bf7, v47
	v_add_f16_e32 v36, v48, v36
	v_fma_f16 v48, v8, 0x2de8, -v50
	v_fmamk_f16 v50, v8, 0x39e9, v42
	v_mul_f16_e32 v10, 0xb1e1, v10
	v_add_f16_e32 v18, v43, v18
	v_fmamk_f16 v43, v47, 0x3964, v51
	v_fma_f16 v42, v8, 0x39e9, -v42
	v_mul_f16_e32 v21, 0xbbdd, v21
	v_add_f16_e32 v34, v34, v45
	v_pk_add_f16 v45, v3, v6 neg_lo:[0,1] neg_hi:[0,1]
	v_add_f16_e32 v43, v43, v44
	v_fmamk_f16 v44, v8, 0xbbdd, v10
	v_add_f16_e32 v39, v42, v39
	v_fmamk_f16 v42, v47, 0x31e1, v21
	v_fma_f16 v10, v8, 0xbbdd, -v10
	v_pk_add_f16 v3, v6, v3
	v_lshrrev_b32_e32 v6, 16, v45
	v_fmac_f16_e32 v21, 0xb1e1, v47
	v_add_f16_e32 v9, v42, v9
	v_pk_mul_f16 v42, 0x3b29, v47 op_sel_hi:[0,1]
	v_add_f16_e32 v10, v10, v17
	v_lshrrev_b32_e32 v17, 16, v3
	v_fmac_f16_e32 v51, 0xb964, v47
	v_add_f16_e32 v44, v44, v46
	v_mul_f16_e32 v46, 0xb836, v6
	v_pk_fma_f16 v47, 0x3722, v8, v42 op_sel:[0,0,1] op_sel_hi:[0,1,0]
	v_pk_fma_f16 v8, 0x3722, v8, v42 op_sel:[0,0,1] op_sel_hi:[0,1,0] neg_lo:[0,0,1] neg_hi:[0,0,1]
	v_add_f16_e32 v21, v21, v22
	v_mul_f16_e32 v22, 0xbacd, v17
	v_add_f16_e32 v37, v48, v37
	v_fmamk_f16 v42, v3, 0xbacd, v46
	v_pk_add_f16 v7, v8, v7
	v_mul_f16_e32 v8, 0x3b29, v6
	v_fmamk_f16 v48, v45, 0x3836, v22
	v_fmac_f16_e32 v22, 0xb836, v45
	v_add_f16_e32 v26, v42, v26
	v_fma_f16 v42, v3, 0xbacd, -v46
	v_fmamk_f16 v46, v3, 0x3722, v8
	v_add_f16_e32 v16, v48, v16
	v_mul_f16_e32 v48, 0x3722, v17
	v_add_f16_e32 v22, v22, v27
	v_add_f16_e32 v24, v42, v24
	;; [unrolled: 1-line block ×3, first 2 shown]
	v_mul_f16_e32 v27, 0xbbf7, v6
	v_fmamk_f16 v42, v45, 0xbb29, v48
	v_fma_f16 v8, v3, 0x3722, -v8
	v_fmac_f16_e32 v48, 0x3b29, v45
	v_mul_f16_e32 v46, 0x2de8, v17
	v_pk_add_f16 v47, v47, v49
	v_fmamk_f16 v49, v3, 0x2de8, v27
	v_add_f16_e32 v20, v42, v20
	v_add_f16_e32 v8, v8, v23
	;; [unrolled: 1-line block ×3, first 2 shown]
	v_fmamk_f16 v25, v45, 0x3bf7, v46
	v_mul_f16_e32 v42, 0x3a62, v6
	v_fma_f16 v27, v3, 0x2de8, -v27
	v_fmac_f16_e32 v46, 0xbbf7, v45
	v_add_f16_e32 v31, v49, v31
	v_add_f16_e32 v25, v25, v32
	v_mul_f16_e32 v32, 0xb8d2, v17
	v_fmamk_f16 v48, v3, 0xb8d2, v42
	v_add_f16_e32 v27, v27, v28
	v_add_f16_e32 v28, v46, v29
	v_mul_f16_e32 v29, 0xb5c8, v6
	v_fmamk_f16 v46, v45, 0xba62, v32
	v_add_f16_e32 v41, v48, v41
	v_fmac_f16_e32 v32, 0x3a62, v45
	v_fma_f16 v42, v3, 0xb8d2, -v42
	v_fmamk_f16 v48, v3, 0x3b76, v29
	v_fma_f16 v29, v3, 0x3b76, -v29
	v_add_f16_e32 v30, v46, v30
	v_add_f16_e32 v32, v32, v36
	v_mul_f16_e32 v36, 0xb1e1, v6
	v_add_f16_e32 v33, v48, v33
	v_mul_f16_e32 v48, 0xbbdd, v17
	v_mul_f16_e32 v46, 0x3b76, v17
	v_add_f16_e32 v29, v29, v37
	v_fmamk_f16 v49, v3, 0xbbdd, v36
	v_fma_f16 v36, v3, 0xbbdd, -v36
	v_fmamk_f16 v37, v45, 0x31e1, v48
	v_mul_f16_e32 v17, 0x39e9, v17
	v_add_f16_e32 v35, v42, v35
	v_fmamk_f16 v42, v45, 0x35c8, v46
	v_mul_f16_e32 v6, 0x3964, v6
	v_add_f16_e32 v37, v37, v43
	v_add_f16_e32 v36, v36, v39
	v_fmamk_f16 v39, v45, 0xb964, v17
	v_pk_add_f16 v43, v4, v5 neg_lo:[0,1] neg_hi:[0,1]
	v_add_f16_e32 v34, v42, v34
	v_fmamk_f16 v42, v3, 0x39e9, v6
	v_fma_f16 v6, v3, 0x39e9, -v6
	v_add_f16_e32 v9, v39, v9
	v_lshrrev_b32_e32 v39, 16, v43
	v_pk_add_f16 v4, v5, v4
	v_add_f16_e32 v42, v42, v44
	v_pk_mul_f16 v5, 0xbbb2, v45 op_sel_hi:[0,1]
	v_add_f16_e32 v6, v6, v10
	v_fmac_f16_e32 v17, 0x3964, v45
	v_mul_f16_e32 v10, 0xb1e1, v39
	v_lshrrev_b32_e32 v44, 16, v4
	v_fmac_f16_e32 v46, 0xb5c8, v45
	v_fmac_f16_e32 v48, 0xb1e1, v45
	v_pk_fma_f16 v45, 0xb461, v3, v5 op_sel:[0,0,1] op_sel_hi:[0,1,0]
	v_pk_fma_f16 v3, 0xb461, v3, v5 op_sel:[0,0,1] op_sel_hi:[0,1,0] neg_lo:[0,0,1] neg_hi:[0,0,1]
	v_add_f16_e32 v5, v17, v21
	v_fmamk_f16 v17, v4, 0xbbdd, v10
	v_mul_f16_e32 v21, 0xbbdd, v44
	v_pk_add_f16 v45, v45, v47
	v_pk_add_f16 v3, v3, v7
	v_mul_f16_e32 v7, 0x35c8, v39
	v_add_f16_e32 v17, v17, v26
	v_fmamk_f16 v26, v43, 0x31e1, v21
	v_fma_f16 v10, v4, 0xbbdd, -v10
	v_fmac_f16_e32 v21, 0xb1e1, v43
	v_mul_f16_e32 v47, 0x3b76, v44
	v_add_f16_e32 v38, v58, v38
	v_add_f16_e32 v18, v46, v18
	v_fmamk_f16 v46, v4, 0x3b76, v7
	v_add_f16_e32 v16, v26, v16
	v_add_f16_e32 v10, v10, v24
	;; [unrolled: 1-line block ×3, first 2 shown]
	v_fmamk_f16 v22, v43, 0xb5c8, v47
	v_mul_f16_e32 v24, 0xb836, v39
	v_fma_f16 v7, v4, 0x3b76, -v7
	v_fmac_f16_e32 v47, 0x35c8, v43
	v_mul_f16_e32 v26, 0xbacd, v44
	v_add_f16_e32 v40, v59, v40
	v_add_f16_e32 v38, v56, v38
	;; [unrolled: 1-line block ×4, first 2 shown]
	v_fmamk_f16 v22, v4, 0xbacd, v24
	v_add_f16_e32 v7, v7, v8
	v_add_f16_e32 v8, v47, v23
	v_fmamk_f16 v23, v43, 0x3836, v26
	v_mul_f16_e32 v46, 0x3964, v39
	v_fma_f16 v24, v4, 0xbacd, -v24
	v_add_f16_e32 v40, v57, v40
	v_add_f16_e32 v38, v54, v38
	;; [unrolled: 1-line block ×3, first 2 shown]
	v_fmac_f16_e32 v26, 0xb836, v43
	v_add_f16_e32 v23, v23, v25
	v_fmamk_f16 v25, v4, 0x39e9, v46
	v_mul_f16_e32 v31, 0x39e9, v44
	v_add_f16_e32 v24, v24, v27
	v_mul_f16_e32 v27, 0xba62, v39
	v_add_f16_e32 v40, v55, v40
	v_add_f16_e32 v38, v52, v38
	;; [unrolled: 1-line block ×4, first 2 shown]
	v_fmamk_f16 v28, v43, 0xb964, v31
	v_fma_f16 v41, v4, 0x39e9, -v46
	v_fmac_f16_e32 v31, 0x3964, v43
	v_fmamk_f16 v46, v4, 0xb8d2, v27
	v_mul_f16_e32 v47, 0xb8d2, v44
	v_add_f16_e32 v40, v53, v40
	v_add_f16_e32 v38, v50, v38
	;; [unrolled: 1-line block ×6, first 2 shown]
	v_fmamk_f16 v33, v43, 0x3a62, v47
	v_mul_f16_e32 v35, 0x3b29, v39
	v_add_f16_e32 v40, v51, v40
	v_add_f16_e32 v38, v49, v38
	v_fma_f16 v27, v4, 0xb8d2, -v27
	v_mul_f16_e32 v41, 0x3722, v44
	v_add_f16_e32 v33, v33, v34
	v_fmamk_f16 v34, v4, 0x3722, v35
	v_add_f16_e32 v40, v48, v40
	v_add_f16_e32 v27, v27, v29
	v_fmamk_f16 v29, v43, 0xbb29, v41
	v_mul_f16_e32 v39, 0xbbb2, v39
	v_add_f16_e32 v34, v34, v38
	v_fma_f16 v35, v4, 0x3722, -v35
	v_fmac_f16_e32 v41, 0x3b29, v43
	v_mul_f16_e32 v38, 0xb461, v44
	v_add_f16_e32 v29, v29, v37
	v_fmamk_f16 v37, v4, 0xb461, v39
	v_add_f16_e32 v35, v35, v36
	v_add_f16_e32 v36, v41, v40
	v_pk_mul_f16 v40, 0x3bf7, v43 op_sel_hi:[0,1]
	v_fmamk_f16 v41, v43, 0x3bb2, v38
	v_add_f16_e32 v37, v37, v42
	v_fma_f16 v39, v4, 0xb461, -v39
	v_fmac_f16_e32 v38, 0xbbb2, v43
	v_pk_fma_f16 v42, 0x2de8, v4, v40 op_sel:[0,0,1] op_sel_hi:[0,1,0]
	v_pk_fma_f16 v4, 0x2de8, v4, v40 op_sel:[0,0,1] op_sel_hi:[0,1,0] neg_lo:[0,0,1] neg_hi:[0,0,1]
	v_add_f16_e32 v9, v41, v9
	v_fmac_f16_e32 v47, 0xba62, v43
	v_add_f16_e32 v5, v38, v5
	v_pk_add_f16 v38, v42, v45
	v_pk_add_f16 v3, v4, v3
	v_pack_b32_f16 v9, v37, v9
	v_add_f16_e32 v6, v39, v6
	v_add_f16_e32 v18, v47, v18
	v_pack_b32_f16 v4, v19, v20
	v_pack_b32_f16 v16, v17, v16
	v_pack_b32_f16 v17, v25, v28
	v_pack_b32_f16 v19, v22, v23
	v_pack_b32_f16 v20, v34, v29
	v_pack_b32_f16 v22, v32, v33
	global_wb scope:SCOPE_SE
	s_barrier_signal -1
	s_barrier_wait -1
	global_inv scope:SCOPE_SE
	ds_store_2addr_b32 v14, v15, v9 offset1:7
	v_bfi_b32 v9, 0xffff, v3, v38
	v_bfi_b32 v3, 0xffff, v38, v3
	v_pack_b32_f16 v15, v35, v36
	v_pack_b32_f16 v5, v6, v5
	;; [unrolled: 1-line block ×7, first 2 shown]
	ds_store_2addr_b32 v14, v16, v4 offset0:1 offset1:2
	ds_store_2addr_b32 v14, v19, v17 offset0:3 offset1:4
	;; [unrolled: 1-line block ×7, first 2 shown]
	ds_store_b32 v14, v10 offset:64
	v_lshlrev_b32_e32 v7, 6, v13
	global_wb scope:SCOPE_SE
	s_wait_dscnt 0x0
	s_barrier_signal -1
	s_barrier_wait -1
	global_inv scope:SCOPE_SE
	s_clause 0x3
	global_load_b128 v[3:6], v7, s[4:5]
	global_load_b128 v[22:25], v7, s[4:5] offset:16
	global_load_b128 v[26:29], v7, s[4:5] offset:32
	;; [unrolled: 1-line block ×3, first 2 shown]
	ds_load_2addr_b32 v[7:8], v1 offset0:51 offset1:68
	ds_load_2addr_b32 v[9:10], v1 offset0:85 offset1:102
	;; [unrolled: 1-line block ×8, first 2 shown]
	ds_load_b32 v40, v11
	ds_load_u16 v11, v1 offset:206
	global_wb scope:SCOPE_SE
	s_wait_loadcnt_dscnt 0x0
	s_barrier_signal -1
	s_barrier_wait -1
	global_inv scope:SCOPE_SE
	s_mul_u64 s[4:5], s[10:11], s[16:17]
	v_lshrrev_b32_e32 v12, 16, v8
	v_lshrrev_b32_e32 v13, 16, v9
	;; [unrolled: 1-line block ×19, first 2 shown]
	s_delay_alu instid0(VALU_DEP_4) | instskip(NEXT) | instid1(VALU_DEP_4)
	v_mul_f16_e32 v54, v20, v21
	v_mul_f16_e32 v57, v52, v53
	;; [unrolled: 1-line block ×3, first 2 shown]
	s_delay_alu instid0(VALU_DEP_3)
	v_fmac_f16_e32 v54, v3, v16
	v_mul_f16_e32 v16, v52, v17
	v_mul_f16_e32 v52, v11, v55
	v_fmac_f16_e32 v57, v4, v17
	v_mul_f16_e32 v17, v55, v7
	v_fma_f16 v3, v3, v21, -v20
	v_fma_f16 v53, v4, v53, -v16
	v_fmac_f16_e32 v52, v5, v7
	v_mul_f16_e32 v4, v8, v56
	v_fma_f16 v55, v11, v5, -v17
	v_lshrrev_b32_e32 v5, 16, v22
	v_lshrrev_b32_e32 v7, 16, v23
	v_mul_f16_e32 v20, v12, v56
	v_fma_f16 v21, v12, v6, -v4
	v_lshrrev_b32_e32 v4, 16, v24
	v_mul_f16_e32 v16, v13, v5
	v_mul_f16_e32 v5, v9, v5
	;; [unrolled: 1-line block ×4, first 2 shown]
	v_fmac_f16_e32 v20, v8, v6
	v_fmac_f16_e32 v16, v9, v22
	v_fma_f16 v17, v13, v22, -v5
	v_lshrrev_b32_e32 v22, 16, v40
	v_lshrrev_b32_e32 v6, 16, v25
	v_fmac_f16_e32 v12, v10, v23
	v_fma_f16 v13, v41, v23, -v7
	v_add_f16_e32 v10, v54, v40
	v_add_f16_e32 v7, v3, v22
	v_mul_f16_e32 v8, v42, v4
	v_mul_f16_e32 v5, v14, v4
	;; [unrolled: 1-line block ×4, first 2 shown]
	v_lshrrev_b32_e32 v11, 16, v26
	v_add_f16_e32 v7, v7, v53
	v_add_f16_e32 v10, v10, v57
	v_fma_f16 v9, v42, v24, -v5
	v_fma_f16 v5, v43, v25, -v6
	v_mul_f16_e32 v6, v44, v11
	v_mul_f16_e32 v11, v18, v11
	v_add_f16_e32 v23, v7, v55
	v_add_f16_e32 v10, v10, v52
	v_fmac_f16_e32 v8, v14, v24
	v_lshrrev_b32_e32 v14, 16, v27
	v_fmac_f16_e32 v6, v18, v26
	v_fma_f16 v7, v44, v26, -v11
	v_add_f16_e32 v11, v23, v21
	v_add_f16_e32 v18, v10, v20
	v_fmac_f16_e32 v4, v15, v25
	v_mul_f16_e32 v10, v45, v14
	v_mul_f16_e32 v23, v19, v14
	v_add_f16_e32 v25, v11, v17
	v_add_f16_e32 v18, v18, v16
	v_lshrrev_b32_e32 v24, 16, v29
	v_fmac_f16_e32 v10, v19, v27
	v_fma_f16 v11, v45, v27, -v23
	v_add_f16_e32 v19, v25, v13
	v_add_f16_e32 v23, v18, v12
	v_mul_f16_e32 v18, v47, v24
	v_mul_f16_e32 v24, v35, v24
	v_lshrrev_b32_e32 v15, 16, v28
	v_add_f16_e32 v25, v19, v9
	v_add_f16_e32 v23, v23, v8
	v_fmac_f16_e32 v18, v35, v29
	v_fma_f16 v19, v47, v29, -v24
	v_mul_f16_e32 v14, v46, v15
	v_add_f16_e32 v24, v25, v5
	v_add_f16_e32 v23, v23, v4
	v_mul_f16_e32 v15, v34, v15
	v_lshrrev_b32_e32 v25, 16, v30
	v_fmac_f16_e32 v14, v34, v28
	v_add_f16_e32 v24, v24, v7
	v_add_f16_e32 v23, v23, v6
	v_fma_f16 v15, v46, v28, -v15
	v_lshrrev_b32_e32 v26, 16, v31
	v_mul_f16_e32 v29, v48, v25
	v_add_f16_e32 v24, v24, v11
	v_add_f16_e32 v23, v23, v10
	v_mul_f16_e32 v25, v36, v25
	v_lshrrev_b32_e32 v27, 16, v32
	v_mul_f16_e32 v34, v49, v26
	v_add_f16_e32 v24, v24, v15
	v_add_f16_e32 v23, v23, v14
	v_fmac_f16_e32 v29, v36, v30
	v_fma_f16 v25, v48, v30, -v25
	v_mul_f16_e32 v26, v37, v26
	v_add_f16_e32 v24, v24, v19
	v_add_f16_e32 v23, v23, v18
	v_lshrrev_b32_e32 v28, 16, v33
	v_fmac_f16_e32 v34, v37, v31
	v_mul_f16_e32 v30, v50, v27
	v_mul_f16_e32 v27, v38, v27
	v_fma_f16 v26, v49, v31, -v26
	v_add_f16_e32 v24, v24, v25
	v_add_f16_e32 v23, v23, v29
	v_fmac_f16_e32 v30, v38, v32
	v_fma_f16 v27, v50, v32, -v27
	v_mul_f16_e32 v31, v51, v28
	v_mul_f16_e32 v28, v39, v28
	v_add_f16_e32 v24, v24, v26
	v_add_f16_e32 v23, v23, v34
	v_sub_f16_e32 v67, v53, v27
	v_fmac_f16_e32 v31, v39, v33
	v_fma_f16 v28, v51, v33, -v28
	v_add_f16_e32 v24, v24, v27
	v_add_f16_e32 v23, v23, v30
	;; [unrolled: 1-line block ×4, first 2 shown]
	v_sub_f16_e32 v32, v3, v28
	v_add_f16_e32 v24, v24, v28
	v_add_f16_e32 v23, v23, v31
	v_add_f16_e32 v28, v3, v28
	v_mul_f16_e32 v53, 0xb964, v67
	v_mul_f16_e32 v35, 0xb5c8, v32
	v_lshlrev_b32_e32 v3, 16, v24
	v_and_b32_e32 v23, 0xffff, v23
	v_sub_f16_e32 v24, v54, v31
	v_mul_f16_e32 v31, 0x3b76, v28
	v_mul_f16_e32 v39, 0x39e9, v28
	;; [unrolled: 1-line block ×3, first 2 shown]
	v_or_b32_e32 v3, v3, v23
	v_mul_f16_e32 v23, 0xb964, v32
	v_mul_f16_e32 v43, 0x3722, v28
	;; [unrolled: 1-line block ×12, first 2 shown]
	v_fmamk_f16 v36, v33, 0x3b76, v35
	v_fmamk_f16 v37, v24, 0x35c8, v31
	v_fma_f16 v35, v33, 0x3b76, -v35
	v_fmac_f16_e32 v31, 0xb5c8, v24
	v_fmamk_f16 v38, v33, 0x39e9, v23
	v_fmamk_f16 v42, v24, 0x3964, v39
	v_fma_f16 v23, v33, 0x39e9, -v23
	v_fmac_f16_e32 v39, 0xb964, v24
	;; [unrolled: 4-line block ×7, first 2 shown]
	v_fmamk_f16 v66, v33, 0xbbdd, v32
	v_fmamk_f16 v68, v24, 0x31e1, v28
	v_fma_f16 v32, v33, 0xbbdd, -v32
	v_add_f16_e32 v33, v57, v30
	v_fmac_f16_e32 v28, 0xb1e1, v24
	v_sub_f16_e32 v24, v57, v30
	v_mul_f16_e32 v30, 0x39e9, v27
	v_add_f16_e32 v36, v36, v40
	v_add_f16_e32 v37, v37, v22
	;; [unrolled: 1-line block ×30, first 2 shown]
	v_fmamk_f16 v68, v33, 0x39e9, v53
	v_add_f16_e32 v32, v32, v40
	v_add_f16_e32 v22, v28, v22
	v_fmamk_f16 v28, v24, 0x3964, v30
	v_mul_f16_e32 v40, 0xbbf7, v67
	v_fmac_f16_e32 v30, 0xb964, v24
	v_add_f16_e32 v36, v68, v36
	v_fma_f16 v53, v33, 0x39e9, -v53
	v_add_f16_e32 v28, v28, v37
	v_fmamk_f16 v37, v33, 0x2de8, v40
	v_mul_f16_e32 v68, 0x2de8, v27
	v_add_f16_e32 v30, v30, v31
	v_mul_f16_e32 v31, 0xba62, v67
	v_add_f16_e32 v35, v53, v35
	v_add_f16_e32 v37, v37, v38
	v_fmamk_f16 v38, v24, 0x3bf7, v68
	v_fma_f16 v40, v33, 0x2de8, -v40
	v_fmamk_f16 v53, v33, 0xb8d2, v31
	v_mul_f16_e32 v69, 0xb8d2, v27
	v_fmac_f16_e32 v68, 0xbbf7, v24
	v_add_f16_e32 v38, v38, v42
	v_add_f16_e32 v23, v40, v23
	;; [unrolled: 1-line block ×3, first 2 shown]
	v_fmamk_f16 v42, v24, 0x3a62, v69
	v_mul_f16_e32 v44, 0xb1e1, v67
	v_fma_f16 v31, v33, 0xb8d2, -v31
	v_fmac_f16_e32 v69, 0xba62, v24
	v_mul_f16_e32 v53, 0xbbdd, v27
	v_add_f16_e32 v39, v68, v39
	v_add_f16_e32 v42, v42, v45
	v_fmamk_f16 v45, v33, 0xbbdd, v44
	v_add_f16_e32 v31, v31, v41
	v_add_f16_e32 v41, v69, v43
	v_fmamk_f16 v43, v24, 0x31e1, v53
	v_mul_f16_e32 v68, 0x3836, v67
	v_add_f16_e32 v45, v45, v48
	v_fma_f16 v44, v33, 0xbbdd, -v44
	v_fmac_f16_e32 v53, 0xb1e1, v24
	v_add_f16_e32 v43, v43, v50
	v_fmamk_f16 v48, v33, 0xbacd, v68
	v_mul_f16_e32 v50, 0xbacd, v27
	v_add_f16_e32 v44, v44, v46
	v_add_f16_e32 v46, v53, v47
	v_mul_f16_e32 v47, 0x3bb2, v67
	v_add_f16_e32 v48, v48, v51
	v_fmamk_f16 v51, v24, 0xb836, v50
	v_fmac_f16_e32 v50, 0x3836, v24
	v_mul_f16_e32 v69, 0xb461, v27
	v_fma_f16 v53, v33, 0xbacd, -v68
	v_fmamk_f16 v68, v33, 0xb461, v47
	v_add_f16_e32 v51, v51, v58
	v_add_f16_e32 v50, v50, v54
	v_fmamk_f16 v54, v24, 0xbbb2, v69
	v_mul_f16_e32 v58, 0x3b29, v67
	v_add_f16_e32 v49, v53, v49
	v_add_f16_e32 v53, v68, v60
	v_fma_f16 v47, v33, 0xb461, -v47
	v_mul_f16_e32 v60, 0x3722, v27
	v_add_f16_e32 v54, v54, v61
	v_fmamk_f16 v61, v33, 0x3722, v58
	v_mul_f16_e32 v67, 0x35c8, v67
	v_fma_f16 v58, v33, 0x3722, -v58
	v_add_f16_e32 v47, v47, v56
	v_fmamk_f16 v56, v24, 0xbb29, v60
	v_add_f16_e32 v61, v61, v64
	v_fmac_f16_e32 v60, 0x3b29, v24
	v_fmamk_f16 v64, v33, 0x3b76, v67
	v_add_f16_e32 v58, v58, v62
	v_sub_f16_e32 v62, v55, v26
	v_add_f16_e32 v56, v56, v65
	v_mul_f16_e32 v27, 0x3b76, v27
	v_add_f16_e32 v60, v60, v63
	v_add_f16_e32 v63, v64, v66
	;; [unrolled: 1-line block ×3, first 2 shown]
	v_mul_f16_e32 v66, 0xbb29, v62
	v_add_f16_e32 v26, v55, v26
	v_fmac_f16_e32 v69, 0x3bb2, v24
	v_fmamk_f16 v64, v24, 0xb5c8, v27
	v_fma_f16 v33, v33, 0x3b76, -v67
	v_fmac_f16_e32 v27, 0x35c8, v24
	v_sub_f16_e32 v24, v52, v34
	v_fmamk_f16 v34, v65, 0x3722, v66
	v_mul_f16_e32 v52, 0x3722, v26
	v_add_f16_e32 v55, v64, v57
	v_add_f16_e32 v32, v33, v32
	;; [unrolled: 1-line block ×4, first 2 shown]
	v_fmamk_f16 v33, v24, 0x3b29, v52
	v_mul_f16_e32 v34, 0xba62, v62
	v_fma_f16 v36, v65, 0x3722, -v66
	v_fmac_f16_e32 v52, 0xbb29, v24
	v_mul_f16_e32 v57, 0xb8d2, v26
	v_add_f16_e32 v28, v33, v28
	v_fmamk_f16 v33, v65, 0xb8d2, v34
	v_add_f16_e32 v35, v36, v35
	v_add_f16_e32 v30, v52, v30
	v_fmamk_f16 v36, v24, 0x3a62, v57
	v_mul_f16_e32 v52, 0x31e1, v62
	v_add_f16_e32 v33, v33, v37
	v_fma_f16 v34, v65, 0xb8d2, -v34
	v_fmac_f16_e32 v57, 0xba62, v24
	v_add_f16_e32 v36, v36, v38
	v_fmamk_f16 v37, v65, 0xbbdd, v52
	v_mul_f16_e32 v38, 0xbbdd, v26
	v_add_f16_e32 v23, v34, v23
	v_add_f16_e32 v34, v57, v39
	v_mul_f16_e32 v39, 0x3bb2, v62
	v_add_f16_e32 v37, v37, v40
	v_fmamk_f16 v40, v24, 0xb1e1, v38
	v_fma_f16 v52, v65, 0xbbdd, -v52
	v_mul_f16_e32 v64, 0xb461, v26
	v_fmac_f16_e32 v38, 0x31e1, v24
	v_fmamk_f16 v57, v65, 0xb461, v39
	v_add_f16_e32 v40, v40, v42
	v_add_f16_e32 v31, v52, v31
	v_fmamk_f16 v42, v24, 0xbbb2, v64
	v_fma_f16 v39, v65, 0xb461, -v39
	v_fmac_f16_e32 v64, 0x3bb2, v24
	v_mul_f16_e32 v52, 0x39e9, v26
	v_add_f16_e32 v38, v38, v41
	v_add_f16_e32 v41, v57, v45
	v_mul_f16_e32 v45, 0x3964, v62
	v_add_f16_e32 v39, v39, v44
	v_add_f16_e32 v44, v64, v46
	v_fmamk_f16 v46, v24, 0xb964, v52
	v_add_f16_e32 v42, v42, v43
	v_fmamk_f16 v43, v65, 0x39e9, v45
	v_mul_f16_e32 v57, 0xb5c8, v62
	v_fma_f16 v45, v65, 0x39e9, -v45
	v_fmac_f16_e32 v52, 0x3964, v24
	v_add_f16_e32 v46, v46, v51
	v_mul_f16_e32 v51, 0x3b76, v26
	v_add_f16_e32 v43, v43, v48
	v_fmamk_f16 v48, v65, 0x3b76, v57
	v_add_f16_e32 v45, v45, v49
	v_add_f16_e32 v49, v52, v50
	v_mul_f16_e32 v50, 0xbbf7, v62
	v_fmamk_f16 v52, v24, 0x35c8, v51
	v_mul_f16_e32 v64, 0x2de8, v26
	v_add_f16_e32 v59, v69, v59
	v_add_f16_e32 v48, v48, v53
	v_fma_f16 v53, v65, 0x3b76, -v57
	v_fmac_f16_e32 v51, 0xb5c8, v24
	v_fmamk_f16 v57, v65, 0x2de8, v50
	v_add_f16_e32 v52, v52, v54
	v_fmamk_f16 v54, v24, 0x3bf7, v64
	v_mul_f16_e32 v26, 0xbacd, v26
	v_fma_f16 v50, v65, 0x2de8, -v50
	v_fmac_f16_e32 v64, 0xbbf7, v24
	v_add_f16_e32 v47, v53, v47
	v_add_f16_e32 v51, v51, v59
	;; [unrolled: 1-line block ×3, first 2 shown]
	v_mul_f16_e32 v57, 0xb836, v62
	v_fmamk_f16 v59, v24, 0x3836, v26
	v_add_f16_e32 v50, v50, v58
	v_add_f16_e32 v58, v64, v60
	v_sub_f16_e32 v60, v21, v25
	v_add_f16_e32 v21, v21, v25
	v_add_f16_e32 v54, v54, v56
	v_fmamk_f16 v56, v65, 0xbacd, v57
	v_add_f16_e32 v55, v59, v55
	v_add_f16_e32 v59, v20, v29
	v_mul_f16_e32 v25, 0xbbf7, v60
	v_fma_f16 v57, v65, 0xbacd, -v57
	v_fmac_f16_e32 v26, 0xb836, v24
	v_sub_f16_e32 v20, v20, v29
	v_mul_f16_e32 v24, 0x2de8, v21
	v_fmamk_f16 v29, v59, 0x2de8, v25
	v_add_f16_e32 v32, v57, v32
	v_add_f16_e32 v22, v26, v22
	v_mul_f16_e32 v26, 0xb1e1, v60
	v_fmamk_f16 v57, v20, 0x3bf7, v24
	v_fmac_f16_e32 v24, 0xbbf7, v20
	v_add_f16_e32 v27, v29, v27
	v_fma_f16 v25, v59, 0x2de8, -v25
	v_fmamk_f16 v29, v59, 0xbbdd, v26
	v_add_f16_e32 v28, v57, v28
	v_mul_f16_e32 v57, 0xbbdd, v21
	v_add_f16_e32 v24, v24, v30
	v_mul_f16_e32 v30, 0x3bb2, v60
	v_add_f16_e32 v25, v25, v35
	v_add_f16_e32 v29, v29, v33
	v_fmamk_f16 v33, v20, 0x31e1, v57
	v_fma_f16 v26, v59, 0xbbdd, -v26
	v_fmac_f16_e32 v57, 0xb1e1, v20
	v_mul_f16_e32 v35, 0xb461, v21
	v_fmamk_f16 v61, v59, 0xb461, v30
	v_add_f16_e32 v33, v33, v36
	v_add_f16_e32 v23, v26, v23
	;; [unrolled: 1-line block ×3, first 2 shown]
	v_fmamk_f16 v34, v20, 0xbbb2, v35
	v_add_f16_e32 v36, v61, v37
	v_mul_f16_e32 v37, 0x35c8, v60
	v_fma_f16 v30, v59, 0xb461, -v30
	v_fmac_f16_e32 v35, 0x3bb2, v20
	v_add_f16_e32 v34, v34, v40
	v_mul_f16_e32 v40, 0x3b76, v21
	v_fmamk_f16 v57, v59, 0x3b76, v37
	v_add_f16_e32 v30, v30, v31
	v_add_f16_e32 v31, v35, v38
	v_mul_f16_e32 v35, 0xbb29, v60
	v_fmamk_f16 v38, v20, 0xb5c8, v40
	v_add_f16_e32 v41, v57, v41
	v_fma_f16 v37, v59, 0x3b76, -v37
	v_fmac_f16_e32 v40, 0x35c8, v20
	v_fmamk_f16 v57, v59, 0x3722, v35
	v_add_f16_e32 v38, v38, v42
	v_mul_f16_e32 v42, 0x3722, v21
	v_add_f16_e32 v37, v37, v39
	v_add_f16_e32 v39, v40, v44
	;; [unrolled: 1-line block ×3, first 2 shown]
	v_mul_f16_e32 v43, 0xb836, v60
	v_fmamk_f16 v44, v20, 0x3b29, v42
	v_fma_f16 v35, v59, 0x3722, -v35
	v_mul_f16_e32 v57, 0xbacd, v21
	v_fmac_f16_e32 v42, 0xbb29, v20
	v_fmamk_f16 v61, v59, 0xbacd, v43
	v_add_f16_e32 v44, v44, v46
	v_add_f16_e32 v35, v35, v45
	v_fmamk_f16 v45, v20, 0x3836, v57
	v_fma_f16 v43, v59, 0xbacd, -v43
	v_add_f16_e32 v46, v61, v48
	v_mul_f16_e32 v48, 0x3a62, v60
	v_fmac_f16_e32 v57, 0xb836, v20
	v_add_f16_e32 v45, v45, v52
	v_add_f16_e32 v43, v43, v47
	;; [unrolled: 1-line block ×3, first 2 shown]
	v_fmamk_f16 v52, v59, 0xb8d2, v48
	v_add_f16_e32 v47, v57, v51
	v_mul_f16_e32 v51, 0x3964, v60
	v_add_f16_e32 v42, v42, v49
	v_mul_f16_e32 v49, 0xb8d2, v21
	v_add_f16_e32 v52, v52, v53
	v_fma_f16 v48, v59, 0xb8d2, -v48
	v_fmamk_f16 v53, v59, 0x39e9, v51
	v_mul_f16_e32 v21, 0x39e9, v21
	v_fmamk_f16 v57, v20, 0xba62, v49
	v_fma_f16 v51, v59, 0x39e9, -v51
	v_add_f16_e32 v48, v48, v50
	v_add_f16_e32 v50, v53, v56
	v_sub_f16_e32 v53, v17, v19
	v_add_f16_e32 v17, v17, v19
	v_add_f16_e32 v54, v57, v54
	v_fmamk_f16 v56, v20, 0xb964, v21
	v_add_f16_e32 v19, v16, v18
	v_mul_f16_e32 v57, 0xbbb2, v53
	v_fmac_f16_e32 v21, 0x3964, v20
	v_sub_f16_e32 v16, v16, v18
	v_mul_f16_e32 v18, 0xb461, v17
	v_fmac_f16_e32 v49, 0x3a62, v20
	v_add_f16_e32 v20, v56, v55
	v_fmamk_f16 v55, v19, 0xb461, v57
	v_add_f16_e32 v32, v51, v32
	v_add_f16_e32 v21, v21, v22
	v_fmamk_f16 v22, v16, 0x3bb2, v18
	v_mul_f16_e32 v51, 0x3836, v53
	v_fmac_f16_e32 v18, 0xbbb2, v16
	v_add_f16_e32 v27, v55, v27
	v_fma_f16 v55, v19, 0xb461, -v57
	v_add_f16_e32 v22, v22, v28
	v_fmamk_f16 v28, v19, 0xbacd, v51
	v_mul_f16_e32 v56, 0xbacd, v17
	v_add_f16_e32 v18, v18, v24
	v_mul_f16_e32 v24, 0x3964, v53
	v_add_f16_e32 v25, v55, v25
	v_add_f16_e32 v28, v28, v29
	v_fmamk_f16 v29, v16, 0xb836, v56
	v_fma_f16 v51, v19, 0xbacd, -v51
	v_fmamk_f16 v55, v19, 0x39e9, v24
	v_mul_f16_e32 v57, 0x39e9, v17
	v_fmac_f16_e32 v56, 0x3836, v16
	v_add_f16_e32 v29, v29, v33
	v_add_f16_e32 v23, v51, v23
	;; [unrolled: 1-line block ×3, first 2 shown]
	v_fmamk_f16 v36, v16, 0xb964, v57
	v_mul_f16_e32 v51, 0xbb29, v53
	v_fma_f16 v24, v19, 0x39e9, -v24
	v_fmac_f16_e32 v57, 0x3964, v16
	v_mul_f16_e32 v55, 0x3722, v17
	v_add_f16_e32 v34, v36, v34
	v_fmamk_f16 v36, v19, 0x3722, v51
	v_add_f16_e32 v26, v56, v26
	v_add_f16_e32 v24, v24, v30
	;; [unrolled: 1-line block ×3, first 2 shown]
	v_fmamk_f16 v31, v16, 0x3b29, v55
	v_mul_f16_e32 v56, 0xb1e1, v53
	v_add_f16_e32 v36, v36, v41
	v_fma_f16 v41, v19, 0x3722, -v51
	v_fmac_f16_e32 v55, 0xbb29, v16
	v_add_f16_e32 v31, v31, v38
	v_fmamk_f16 v38, v19, 0xbbdd, v56
	v_mul_f16_e32 v51, 0xbbdd, v17
	v_add_f16_e32 v37, v41, v37
	v_mul_f16_e32 v41, 0x3bf7, v53
	v_add_f16_e32 v39, v55, v39
	v_add_f16_e32 v38, v38, v40
	v_fmamk_f16 v40, v16, 0x31e1, v51
	v_fma_f16 v55, v19, 0xbbdd, -v56
	v_fmac_f16_e32 v51, 0xb1e1, v16
	v_fmamk_f16 v56, v19, 0x2de8, v41
	v_mul_f16_e32 v57, 0x2de8, v17
	v_add_f16_e32 v40, v40, v44
	v_add_f16_e32 v35, v55, v35
	;; [unrolled: 1-line block ×4, first 2 shown]
	v_fmamk_f16 v46, v16, 0xbbf7, v57
	v_mul_f16_e32 v51, 0xb5c8, v53
	v_fma_f16 v41, v19, 0x2de8, -v41
	v_mul_f16_e32 v55, 0x3b76, v17
	v_add_f16_e32 v49, v49, v58
	v_add_f16_e32 v45, v46, v45
	v_fmamk_f16 v46, v19, 0x3b76, v51
	v_fma_f16 v51, v19, 0x3b76, -v51
	v_add_f16_e32 v41, v41, v43
	v_fmamk_f16 v43, v16, 0x35c8, v55
	v_mul_f16_e32 v53, 0xba62, v53
	v_fmac_f16_e32 v55, 0xb5c8, v16
	v_add_f16_e32 v48, v51, v48
	v_sub_f16_e32 v51, v13, v15
	v_add_f16_e32 v46, v46, v52
	v_add_f16_e32 v43, v43, v54
	v_fmamk_f16 v52, v19, 0xb8d2, v53
	v_mul_f16_e32 v17, 0xb8d2, v17
	v_add_f16_e32 v49, v55, v49
	v_add_f16_e32 v54, v12, v14
	v_mul_f16_e32 v55, 0xba62, v51
	v_add_f16_e32 v13, v13, v15
	v_fmac_f16_e32 v57, 0x3bf7, v16
	v_add_f16_e32 v50, v52, v50
	v_fmamk_f16 v52, v16, 0x3a62, v17
	v_fma_f16 v15, v19, 0xb8d2, -v53
	v_fmac_f16_e32 v17, 0xba62, v16
	v_sub_f16_e32 v12, v12, v14
	v_fmamk_f16 v14, v54, 0xb8d2, v55
	v_mul_f16_e32 v16, 0xb8d2, v13
	v_add_f16_e32 v19, v52, v20
	v_add_f16_e32 v15, v15, v32
	;; [unrolled: 1-line block ×4, first 2 shown]
	v_fmamk_f16 v20, v12, 0x3a62, v16
	v_mul_f16_e32 v21, 0x3bb2, v51
	v_fma_f16 v27, v54, 0xb8d2, -v55
	v_fmac_f16_e32 v16, 0xba62, v12
	v_mul_f16_e32 v32, 0xb461, v13
	v_add_f16_e32 v20, v20, v22
	v_fmamk_f16 v22, v54, 0xb461, v21
	v_add_f16_e32 v25, v27, v25
	v_add_f16_e32 v16, v16, v18
	v_fmamk_f16 v18, v12, 0xbbb2, v32
	v_mul_f16_e32 v27, 0xb5c8, v51
	v_fma_f16 v21, v54, 0xb461, -v21
	v_fmac_f16_e32 v32, 0x3bb2, v12
	v_add_f16_e32 v22, v22, v28
	v_add_f16_e32 v18, v18, v29
	v_fmamk_f16 v28, v54, 0x3b76, v27
	v_mul_f16_e32 v29, 0x3b76, v13
	v_add_f16_e32 v21, v21, v23
	v_add_f16_e32 v23, v32, v26
	v_mul_f16_e32 v26, 0xb836, v51
	v_add_f16_e32 v28, v28, v33
	v_fmamk_f16 v32, v12, 0x35c8, v29
	v_fma_f16 v27, v54, 0x3b76, -v27
	v_fmac_f16_e32 v29, 0xb5c8, v12
	v_fmamk_f16 v33, v54, 0xbacd, v26
	v_mul_f16_e32 v52, 0xbacd, v13
	v_add_f16_e32 v32, v32, v34
	v_add_f16_e32 v24, v27, v24
	;; [unrolled: 1-line block ×4, first 2 shown]
	v_fmamk_f16 v30, v12, 0x3836, v52
	v_mul_f16_e32 v33, 0x3bf7, v51
	v_fma_f16 v26, v54, 0xbacd, -v26
	v_fmac_f16_e32 v52, 0xb836, v12
	v_mul_f16_e32 v34, 0x2de8, v13
	v_add_f16_e32 v30, v30, v31
	v_fmamk_f16 v31, v54, 0x2de8, v33
	v_add_f16_e32 v26, v26, v37
	v_add_f16_e32 v36, v52, v39
	v_fmamk_f16 v37, v12, 0xbbf7, v34
	v_mul_f16_e32 v39, 0xb964, v51
	v_fma_f16 v33, v54, 0x2de8, -v33
	v_add_f16_e32 v31, v31, v38
	v_fmac_f16_e32 v34, 0x3bf7, v12
	v_add_f16_e32 v37, v37, v40
	v_fmamk_f16 v38, v54, 0x39e9, v39
	v_mul_f16_e32 v40, 0x39e9, v13
	v_add_f16_e32 v33, v33, v35
	v_mul_f16_e32 v35, 0xb1e1, v51
	v_add_f16_e32 v34, v34, v42
	v_add_f16_e32 v38, v38, v44
	v_fmamk_f16 v42, v12, 0x3964, v40
	v_fma_f16 v39, v54, 0x39e9, -v39
	v_fmamk_f16 v44, v54, 0xbbdd, v35
	v_mul_f16_e32 v52, 0xbbdd, v13
	v_mul_f16_e32 v13, 0x3722, v13
	v_fma_f16 v35, v54, 0xbbdd, -v35
	v_add_f16_e32 v42, v42, v45
	v_add_f16_e32 v39, v39, v41
	;; [unrolled: 1-line block ×3, first 2 shown]
	v_fmamk_f16 v44, v12, 0x31e1, v52
	v_mul_f16_e32 v45, 0x3b29, v51
	v_fmamk_f16 v46, v12, 0xbb29, v13
	v_add_f16_e32 v35, v35, v48
	v_sub_f16_e32 v48, v9, v11
	v_add_f16_e32 v9, v9, v11
	v_add_f16_e32 v43, v44, v43
	v_fmamk_f16 v44, v54, 0x3722, v45
	v_add_f16_e32 v19, v46, v19
	v_add_f16_e32 v46, v8, v10
	v_mul_f16_e32 v11, 0xb836, v48
	v_fma_f16 v45, v54, 0x3722, -v45
	v_fmac_f16_e32 v13, 0x3b29, v12
	v_sub_f16_e32 v8, v8, v10
	v_mul_f16_e32 v10, 0xbacd, v9
	v_fmac_f16_e32 v40, 0xb964, v12
	v_fmac_f16_e32 v52, 0xb1e1, v12
	v_fmamk_f16 v12, v46, 0xbacd, v11
	v_add_f16_e32 v15, v45, v15
	v_add_f16_e32 v13, v13, v17
	v_mul_f16_e32 v17, 0x3b29, v48
	v_fmamk_f16 v45, v8, 0x3836, v10
	v_add_f16_e32 v12, v12, v14
	v_fma_f16 v11, v46, 0xbacd, -v11
	v_fmac_f16_e32 v10, 0xb836, v8
	v_fmamk_f16 v14, v46, 0x3722, v17
	v_add_f16_e32 v20, v45, v20
	v_mul_f16_e32 v45, 0x3722, v9
	v_add_f16_e32 v47, v57, v47
	v_add_f16_e32 v11, v11, v25
	;; [unrolled: 1-line block ×4, first 2 shown]
	v_mul_f16_e32 v16, 0xbbf7, v48
	v_fmamk_f16 v22, v8, 0xbb29, v45
	v_mul_f16_e32 v25, 0x2de8, v9
	v_add_f16_e32 v40, v40, v47
	v_add_f16_e32 v47, v52, v49
	v_fma_f16 v17, v46, 0x3722, -v17
	v_fmac_f16_e32 v45, 0x3b29, v8
	v_fmamk_f16 v49, v46, 0x2de8, v16
	v_add_f16_e32 v18, v22, v18
	v_fmamk_f16 v22, v8, 0x3bf7, v25
	v_add_f16_e32 v17, v17, v21
	v_add_f16_e32 v21, v45, v23
	;; [unrolled: 1-line block ×3, first 2 shown]
	v_mul_f16_e32 v28, 0x3a62, v48
	v_fma_f16 v16, v46, 0x2de8, -v16
	v_fmac_f16_e32 v25, 0xbbf7, v8
	v_add_f16_e32 v22, v22, v32
	v_mul_f16_e32 v32, 0xb8d2, v9
	v_fmamk_f16 v45, v46, 0xb8d2, v28
	v_add_f16_e32 v16, v16, v24
	v_add_f16_e32 v24, v25, v27
	v_mul_f16_e32 v25, 0xb5c8, v48
	v_fmamk_f16 v27, v8, 0xba62, v32
	v_add_f16_e32 v29, v45, v29
	v_fma_f16 v28, v46, 0xb8d2, -v28
	v_fmac_f16_e32 v32, 0x3a62, v8
	v_fmamk_f16 v45, v46, 0x3b76, v25
	v_add_f16_e32 v27, v27, v30
	v_mul_f16_e32 v30, 0x3b76, v9
	v_add_f16_e32 v26, v28, v26
	v_add_f16_e32 v28, v32, v36
	;; [unrolled: 1-line block ×3, first 2 shown]
	v_mul_f16_e32 v32, 0xb1e1, v48
	v_fmamk_f16 v36, v8, 0x35c8, v30
	v_fma_f16 v25, v46, 0x3b76, -v25
	v_mul_f16_e32 v45, 0xbbdd, v9
	v_fmac_f16_e32 v30, 0xb5c8, v8
	v_fmamk_f16 v49, v46, 0xbbdd, v32
	v_add_f16_e32 v36, v36, v37
	v_add_f16_e32 v25, v25, v33
	v_fmamk_f16 v33, v8, 0x31e1, v45
	v_mul_f16_e32 v37, 0x3964, v48
	v_fma_f16 v32, v46, 0xbbdd, -v32
	v_fmac_f16_e32 v45, 0xb1e1, v8
	v_add_f16_e32 v30, v30, v34
	v_add_f16_e32 v34, v49, v38
	;; [unrolled: 1-line block ×3, first 2 shown]
	v_mul_f16_e32 v38, 0x39e9, v9
	v_fmamk_f16 v42, v46, 0x39e9, v37
	v_add_f16_e32 v32, v32, v39
	v_add_f16_e32 v39, v45, v40
	v_mul_f16_e32 v40, 0xbbb2, v48
	v_add_f16_e32 v44, v44, v50
	v_fmamk_f16 v45, v8, 0xb964, v38
	v_add_f16_e32 v41, v42, v41
	v_fma_f16 v37, v46, 0x39e9, -v37
	v_fmac_f16_e32 v38, 0x3964, v8
	v_fmamk_f16 v42, v46, 0xb461, v40
	v_mul_f16_e32 v9, 0xb461, v9
	v_add_f16_e32 v43, v45, v43
	v_add_f16_e32 v35, v37, v35
	;; [unrolled: 1-line block ×4, first 2 shown]
	v_sub_f16_e32 v42, v5, v7
	v_add_f16_e32 v5, v5, v7
	v_fmamk_f16 v44, v8, 0x3bb2, v9
	v_fma_f16 v40, v46, 0xb461, -v40
	v_add_f16_e32 v7, v4, v6
	v_mul_f16_e32 v45, 0xb1e1, v42
	v_fmac_f16_e32 v9, 0xbbb2, v8
	v_sub_f16_e32 v4, v4, v6
	v_mul_f16_e32 v6, 0xbbdd, v5
	v_add_f16_e32 v8, v44, v19
	v_fmamk_f16 v19, v7, 0xbbdd, v45
	v_add_f16_e32 v15, v40, v15
	v_add_f16_e32 v9, v9, v13
	v_fmamk_f16 v13, v4, 0x31e1, v6
	v_mul_f16_e32 v40, 0x35c8, v42
	v_fmac_f16_e32 v6, 0xb1e1, v4
	v_add_f16_e32 v12, v19, v12
	v_fma_f16 v19, v7, 0xbbdd, -v45
	v_add_f16_e32 v13, v13, v20
	v_fmamk_f16 v20, v7, 0x3b76, v40
	v_mul_f16_e32 v44, 0x3b76, v5
	v_add_f16_e32 v6, v6, v10
	v_mul_f16_e32 v10, 0xb836, v42
	v_add_f16_e32 v11, v19, v11
	v_add_f16_e32 v14, v20, v14
	v_fmamk_f16 v19, v4, 0xb5c8, v44
	v_fma_f16 v20, v7, 0x3b76, -v40
	v_fmac_f16_e32 v44, 0x35c8, v4
	v_fmamk_f16 v40, v7, 0xbacd, v10
	v_mul_f16_e32 v45, 0xbacd, v5
	v_add_f16_e32 v18, v19, v18
	v_add_f16_e32 v17, v20, v17
	;; [unrolled: 1-line block ×4, first 2 shown]
	v_fmamk_f16 v21, v4, 0x3836, v45
	v_mul_f16_e32 v23, 0x3964, v42
	v_fma_f16 v10, v7, 0xbacd, -v10
	v_fmac_f16_e32 v45, 0xb836, v4
	v_mul_f16_e32 v40, 0x39e9, v5
	v_add_f16_e32 v21, v21, v22
	v_fmamk_f16 v22, v7, 0x39e9, v23
	v_add_f16_e32 v10, v10, v16
	v_add_f16_e32 v16, v45, v24
	v_fmamk_f16 v24, v4, 0xb964, v40
	v_mul_f16_e32 v44, 0xba62, v42
	v_fma_f16 v23, v7, 0x39e9, -v23
	v_fmac_f16_e32 v40, 0x3964, v4
	v_add_f16_e32 v22, v22, v29
	v_add_f16_e32 v24, v24, v27
	v_fmamk_f16 v27, v7, 0xb8d2, v44
	v_mul_f16_e32 v29, 0xb8d2, v5
	v_add_f16_e32 v23, v23, v26
	v_add_f16_e32 v26, v40, v28
	v_mul_f16_e32 v28, 0x3b29, v42
	v_add_f16_e32 v27, v27, v31
	v_fmamk_f16 v31, v4, 0x3a62, v29
	v_fma_f16 v40, v7, 0xb8d2, -v44
	v_fmac_f16_e32 v29, 0xba62, v4
	v_fmamk_f16 v44, v7, 0x3722, v28
	v_mul_f16_e32 v45, 0x3722, v5
	v_add_f16_e32 v31, v31, v36
	v_mul_f16_e32 v36, 0xbbb2, v42
	v_add_f16_e32 v29, v29, v30
	v_add_f16_e32 v30, v44, v34
	v_fmamk_f16 v34, v4, 0xbb29, v45
	v_add_f16_e32 v25, v40, v25
	v_mul_f16_e32 v40, 0xb461, v5
	v_mul_f16_e32 v5, 0x2de8, v5
	v_pack_b32_f16 v12, v12, v13
	v_add_f16_e32 v33, v34, v33
	v_fmamk_f16 v34, v7, 0xb461, v36
	v_fma_f16 v36, v7, 0xb461, -v36
	v_fma_f16 v28, v7, 0x3722, -v28
	v_fmac_f16_e32 v45, 0x3b29, v4
	ds_store_2addr_b32 v1, v3, v12 offset1:17
	v_add_f16_e32 v34, v34, v41
	v_mul_f16_e32 v41, 0x3bf7, v42
	v_fmamk_f16 v42, v4, 0xbbf7, v5
	v_fmac_f16_e32 v5, 0x3bf7, v4
	v_add_f16_e32 v35, v36, v35
	v_pack_b32_f16 v3, v14, v18
	v_fmamk_f16 v36, v7, 0x2de8, v41
	v_fma_f16 v7, v7, 0x2de8, -v41
	v_add_f16_e32 v5, v5, v9
	v_mul_u32_u24_e32 v9, 0x2493, v0
	v_add_f16_e32 v28, v28, v32
	v_add_f16_e32 v32, v45, v39
	v_fmamk_f16 v39, v4, 0x3bb2, v40
	v_fmac_f16_e32 v40, 0xbbb2, v4
	v_lshrrev_b32_e32 v9, 16, v9
	v_add_f16_e32 v36, v36, v38
	v_add_f16_e32 v8, v42, v8
	;; [unrolled: 1-line block ×4, first 2 shown]
	v_mul_lo_u16 v14, v9, 7
	v_add_f16_e32 v4, v40, v37
	v_pack_b32_f16 v12, v20, v21
	v_pack_b32_f16 v8, v36, v8
	;; [unrolled: 1-line block ×3, first 2 shown]
	v_sub_nc_u16 v0, v0, v14
	v_pack_b32_f16 v13, v22, v24
	v_pack_b32_f16 v15, v27, v31
	;; [unrolled: 1-line block ×4, first 2 shown]
	v_and_b32_e32 v7, 0xffff, v0
	ds_store_2addr_b32 v1, v3, v12 offset0:34 offset1:51
	ds_store_2addr_b32 v1, v13, v15 offset0:68 offset1:85
	;; [unrolled: 1-line block ×4, first 2 shown]
	v_pack_b32_f16 v5, v35, v4
	v_pack_b32_f16 v8, v28, v32
	v_mad_co_u64_u32 v[3:4], null, s0, v7, 0
	v_pack_b32_f16 v12, v25, v29
	v_pack_b32_f16 v13, v23, v26
	ds_store_2addr_b32 v1, v5, v8 offset0:170 offset1:187
	v_pack_b32_f16 v5, v10, v16
	v_pack_b32_f16 v8, v17, v19
	v_mul_lo_u16 v10, 0x121, v0
	v_mov_b32_e32 v0, v4
	v_pack_b32_f16 v6, v11, v6
	ds_store_2addr_b32 v1, v12, v13 offset0:204 offset1:221
	ds_store_2addr_b32 v1, v5, v8 offset0:238 offset1:255
	v_and_b32_e32 v8, 0xffff, v10
	v_mad_co_u64_u32 v[4:5], null, s1, v7, v[0:1]
	v_lshlrev_b32_e32 v7, 2, v9
	ds_store_b32 v1, v6 offset:1088
	v_lshlrev_b32_e32 v0, 2, v8
	v_mul_lo_u32 v1, s12, v9
	s_wait_alu 0xfffe
	s_lshl_b64 s[0:1], s[2:3], 2
	s_lshl_b64 s[2:3], s[8:9], 2
	s_wait_alu 0xfffe
	s_add_nc_u64 s[0:1], s[14:15], s[0:1]
	v_add3_u32 v5, 0, v0, v7
	v_lshlrev_b64_e32 v[3:4], 2, v[3:4]
	s_mul_i32 s12, s12, 17
	s_wait_alu 0xfffe
	s_add_nc_u64 s[0:1], s[0:1], s[2:3]
	s_lshl_b64 s[2:3], s[4:5], 2
	global_wb scope:SCOPE_SE
	s_wait_dscnt 0x0
	s_barrier_signal -1
	s_barrier_wait -1
	global_inv scope:SCOPE_SE
	ds_load_b32 v17, v5
	v_lshlrev_b64_e32 v[5:6], 2, v[1:2]
	v_add_nc_u32_e32 v1, s12, v1
	s_wait_alu 0xfffe
	s_add_nc_u64 s[0:1], s[0:1], s[2:3]
	v_add3_u32 v0, 0, v7, v0
	s_wait_alu 0xfffe
	v_add_co_u32 v19, vcc_lo, s0, v3
	s_wait_alu 0xfffd
	v_add_co_ci_u32_e32 v20, vcc_lo, s1, v4, vcc_lo
	v_lshlrev_b64_e32 v[3:4], 2, v[1:2]
	v_add_nc_u32_e32 v1, s12, v1
	ds_load_2addr_b32 v[7:8], v0 offset0:17 offset1:34
	ds_load_2addr_b32 v[11:12], v0 offset0:51 offset1:68
	v_add_co_u32 v5, vcc_lo, v19, v5
	v_lshlrev_b64_e32 v[9:10], 2, v[1:2]
	v_add_nc_u32_e32 v1, s12, v1
	s_wait_alu 0xfffd
	v_add_co_ci_u32_e32 v6, vcc_lo, v20, v6, vcc_lo
	v_add_co_u32 v3, vcc_lo, v19, v3
	s_delay_alu instid0(VALU_DEP_3)
	v_lshlrev_b64_e32 v[13:14], 2, v[1:2]
	v_add_nc_u32_e32 v1, s12, v1
	s_wait_alu 0xfffd
	v_add_co_ci_u32_e32 v4, vcc_lo, v20, v4, vcc_lo
	v_add_co_u32 v9, vcc_lo, v19, v9
	s_wait_alu 0xfffd
	v_add_co_ci_u32_e32 v10, vcc_lo, v20, v10, vcc_lo
	v_lshlrev_b64_e32 v[15:16], 2, v[1:2]
	v_add_nc_u32_e32 v1, s12, v1
	v_add_co_u32 v13, vcc_lo, v19, v13
	s_wait_alu 0xfffd
	v_add_co_ci_u32_e32 v14, vcc_lo, v20, v14, vcc_lo
	s_wait_dscnt 0x2
	global_store_b32 v[5:6], v17, off
	s_wait_dscnt 0x1
	s_clause 0x1
	global_store_b32 v[3:4], v7, off
	global_store_b32 v[9:10], v8, off
	s_wait_dscnt 0x0
	global_store_b32 v[13:14], v11, off
	v_lshlrev_b64_e32 v[3:4], 2, v[1:2]
	v_add_nc_u32_e32 v1, s12, v1
	ds_load_2addr_b32 v[7:8], v0 offset0:85 offset1:102
	ds_load_2addr_b32 v[13:14], v0 offset0:119 offset1:136
	v_add_co_u32 v5, vcc_lo, v19, v15
	v_lshlrev_b64_e32 v[9:10], 2, v[1:2]
	v_add_nc_u32_e32 v1, s12, v1
	s_wait_alu 0xfffd
	v_add_co_ci_u32_e32 v6, vcc_lo, v20, v16, vcc_lo
	v_add_co_u32 v3, vcc_lo, v19, v3
	s_delay_alu instid0(VALU_DEP_3)
	v_lshlrev_b64_e32 v[15:16], 2, v[1:2]
	v_add_nc_u32_e32 v1, s12, v1
	s_wait_alu 0xfffd
	v_add_co_ci_u32_e32 v4, vcc_lo, v20, v4, vcc_lo
	v_add_co_u32 v9, vcc_lo, v19, v9
	s_wait_alu 0xfffd
	v_add_co_ci_u32_e32 v10, vcc_lo, v20, v10, vcc_lo
	v_lshlrev_b64_e32 v[17:18], 2, v[1:2]
	v_add_nc_u32_e32 v1, s12, v1
	v_add_co_u32 v15, vcc_lo, v19, v15
	s_wait_alu 0xfffd
	v_add_co_ci_u32_e32 v16, vcc_lo, v20, v16, vcc_lo
	global_store_b32 v[5:6], v12, off
	s_wait_dscnt 0x1
	s_clause 0x1
	global_store_b32 v[3:4], v7, off
	global_store_b32 v[9:10], v8, off
	s_wait_dscnt 0x0
	global_store_b32 v[15:16], v13, off
	v_lshlrev_b64_e32 v[3:4], 2, v[1:2]
	v_add_nc_u32_e32 v1, s12, v1
	ds_load_2addr_b32 v[7:8], v0 offset0:153 offset1:170
	ds_load_2addr_b32 v[11:12], v0 offset0:187 offset1:204
	v_add_co_u32 v5, vcc_lo, v19, v17
	v_lshlrev_b64_e32 v[9:10], 2, v[1:2]
	v_add_nc_u32_e32 v1, s12, v1
	s_wait_alu 0xfffd
	v_add_co_ci_u32_e32 v6, vcc_lo, v20, v18, vcc_lo
	v_add_co_u32 v3, vcc_lo, v19, v3
	s_delay_alu instid0(VALU_DEP_3)
	v_lshlrev_b64_e32 v[15:16], 2, v[1:2]
	v_add_nc_u32_e32 v1, s12, v1
	s_wait_alu 0xfffd
	v_add_co_ci_u32_e32 v4, vcc_lo, v20, v4, vcc_lo
	v_add_co_u32 v9, vcc_lo, v19, v9
	s_wait_alu 0xfffd
	v_add_co_ci_u32_e32 v10, vcc_lo, v20, v10, vcc_lo
	v_lshlrev_b64_e32 v[17:18], 2, v[1:2]
	v_add_nc_u32_e32 v1, s12, v1
	v_add_co_u32 v15, vcc_lo, v19, v15
	s_wait_alu 0xfffd
	v_add_co_ci_u32_e32 v16, vcc_lo, v20, v16, vcc_lo
	global_store_b32 v[5:6], v14, off
	s_wait_dscnt 0x1
	s_clause 0x1
	global_store_b32 v[3:4], v7, off
	global_store_b32 v[9:10], v8, off
	s_wait_dscnt 0x0
	global_store_b32 v[15:16], v11, off
	v_lshlrev_b64_e32 v[3:4], 2, v[1:2]
	v_add_nc_u32_e32 v1, s12, v1
	v_add_nc_u32_e32 v11, 0x200, v0
	ds_load_2addr_b32 v[7:8], v0 offset0:221 offset1:238
	v_add_co_u32 v5, vcc_lo, v19, v17
	v_lshlrev_b64_e32 v[9:10], 2, v[1:2]
	v_add_nc_u32_e32 v1, s12, v1
	ds_load_2addr_b32 v[13:14], v11 offset0:127 offset1:144
	s_wait_alu 0xfffd
	v_add_co_ci_u32_e32 v6, vcc_lo, v20, v18, vcc_lo
	v_add_co_u32 v3, vcc_lo, v19, v3
	v_lshlrev_b64_e32 v[15:16], 2, v[1:2]
	v_add_nc_u32_e32 v1, s12, v1
	s_wait_alu 0xfffd
	v_add_co_ci_u32_e32 v4, vcc_lo, v20, v4, vcc_lo
	v_add_co_u32 v9, vcc_lo, v19, v9
	s_delay_alu instid0(VALU_DEP_3)
	v_lshlrev_b64_e32 v[0:1], 2, v[1:2]
	s_wait_alu 0xfffd
	v_add_co_ci_u32_e32 v10, vcc_lo, v20, v10, vcc_lo
	v_add_co_u32 v15, vcc_lo, v19, v15
	s_wait_alu 0xfffd
	v_add_co_ci_u32_e32 v16, vcc_lo, v20, v16, vcc_lo
	v_add_co_u32 v0, vcc_lo, v19, v0
	s_wait_alu 0xfffd
	v_add_co_ci_u32_e32 v1, vcc_lo, v20, v1, vcc_lo
	global_store_b32 v[5:6], v12, off
	s_wait_dscnt 0x1
	s_clause 0x1
	global_store_b32 v[3:4], v7, off
	global_store_b32 v[9:10], v8, off
	s_wait_dscnt 0x0
	s_clause 0x1
	global_store_b32 v[15:16], v13, off
	global_store_b32 v[0:1], v14, off
	s_nop 0
	s_sendmsg sendmsg(MSG_DEALLOC_VGPRS)
	s_endpgm
	.section	.rodata,"a",@progbits
	.p2align	6, 0x0
	.amdhsa_kernel fft_rtc_back_len289_factors_17_17_wgs_119_tpt_17_half_op_CI_CI_sbrc_z_xy_aligned
		.amdhsa_group_segment_fixed_size 0
		.amdhsa_private_segment_fixed_size 0
		.amdhsa_kernarg_size 104
		.amdhsa_user_sgpr_count 2
		.amdhsa_user_sgpr_dispatch_ptr 0
		.amdhsa_user_sgpr_queue_ptr 0
		.amdhsa_user_sgpr_kernarg_segment_ptr 1
		.amdhsa_user_sgpr_dispatch_id 0
		.amdhsa_user_sgpr_private_segment_size 0
		.amdhsa_wavefront_size32 1
		.amdhsa_uses_dynamic_stack 0
		.amdhsa_enable_private_segment 0
		.amdhsa_system_sgpr_workgroup_id_x 1
		.amdhsa_system_sgpr_workgroup_id_y 0
		.amdhsa_system_sgpr_workgroup_id_z 0
		.amdhsa_system_sgpr_workgroup_info 0
		.amdhsa_system_vgpr_workitem_id 0
		.amdhsa_next_free_vgpr 70
		.amdhsa_next_free_sgpr 26
		.amdhsa_reserve_vcc 1
		.amdhsa_float_round_mode_32 0
		.amdhsa_float_round_mode_16_64 0
		.amdhsa_float_denorm_mode_32 3
		.amdhsa_float_denorm_mode_16_64 3
		.amdhsa_fp16_overflow 0
		.amdhsa_workgroup_processor_mode 1
		.amdhsa_memory_ordered 1
		.amdhsa_forward_progress 0
		.amdhsa_round_robin_scheduling 0
		.amdhsa_exception_fp_ieee_invalid_op 0
		.amdhsa_exception_fp_denorm_src 0
		.amdhsa_exception_fp_ieee_div_zero 0
		.amdhsa_exception_fp_ieee_overflow 0
		.amdhsa_exception_fp_ieee_underflow 0
		.amdhsa_exception_fp_ieee_inexact 0
		.amdhsa_exception_int_div_zero 0
	.end_amdhsa_kernel
	.text
.Lfunc_end0:
	.size	fft_rtc_back_len289_factors_17_17_wgs_119_tpt_17_half_op_CI_CI_sbrc_z_xy_aligned, .Lfunc_end0-fft_rtc_back_len289_factors_17_17_wgs_119_tpt_17_half_op_CI_CI_sbrc_z_xy_aligned
                                        ; -- End function
	.section	.AMDGPU.csdata,"",@progbits
; Kernel info:
; codeLenInByte = 14424
; NumSgprs: 28
; NumVgprs: 70
; ScratchSize: 0
; MemoryBound: 0
; FloatMode: 240
; IeeeMode: 1
; LDSByteSize: 0 bytes/workgroup (compile time only)
; SGPRBlocks: 3
; VGPRBlocks: 8
; NumSGPRsForWavesPerEU: 28
; NumVGPRsForWavesPerEU: 70
; Occupancy: 16
; WaveLimiterHint : 1
; COMPUTE_PGM_RSRC2:SCRATCH_EN: 0
; COMPUTE_PGM_RSRC2:USER_SGPR: 2
; COMPUTE_PGM_RSRC2:TRAP_HANDLER: 0
; COMPUTE_PGM_RSRC2:TGID_X_EN: 1
; COMPUTE_PGM_RSRC2:TGID_Y_EN: 0
; COMPUTE_PGM_RSRC2:TGID_Z_EN: 0
; COMPUTE_PGM_RSRC2:TIDIG_COMP_CNT: 0
	.text
	.p2alignl 7, 3214868480
	.fill 96, 4, 3214868480
	.type	__hip_cuid_a57025a26886b9e,@object ; @__hip_cuid_a57025a26886b9e
	.section	.bss,"aw",@nobits
	.globl	__hip_cuid_a57025a26886b9e
__hip_cuid_a57025a26886b9e:
	.byte	0                               ; 0x0
	.size	__hip_cuid_a57025a26886b9e, 1

	.ident	"AMD clang version 19.0.0git (https://github.com/RadeonOpenCompute/llvm-project roc-6.4.0 25133 c7fe45cf4b819c5991fe208aaa96edf142730f1d)"
	.section	".note.GNU-stack","",@progbits
	.addrsig
	.addrsig_sym __hip_cuid_a57025a26886b9e
	.amdgpu_metadata
---
amdhsa.kernels:
  - .args:
      - .actual_access:  read_only
        .address_space:  global
        .offset:         0
        .size:           8
        .value_kind:     global_buffer
      - .offset:         8
        .size:           8
        .value_kind:     by_value
      - .actual_access:  read_only
        .address_space:  global
        .offset:         16
        .size:           8
        .value_kind:     global_buffer
      - .actual_access:  read_only
        .address_space:  global
        .offset:         24
        .size:           8
        .value_kind:     global_buffer
      - .actual_access:  read_only
        .address_space:  global
        .offset:         32
        .size:           8
        .value_kind:     global_buffer
      - .offset:         40
        .size:           8
        .value_kind:     by_value
      - .actual_access:  read_only
        .address_space:  global
        .offset:         48
        .size:           8
        .value_kind:     global_buffer
      - .actual_access:  read_only
        .address_space:  global
        .offset:         56
        .size:           8
        .value_kind:     global_buffer
      - .offset:         64
        .size:           4
        .value_kind:     by_value
      - .actual_access:  read_only
        .address_space:  global
        .offset:         72
        .size:           8
        .value_kind:     global_buffer
      - .actual_access:  read_only
        .address_space:  global
        .offset:         80
        .size:           8
        .value_kind:     global_buffer
      - .actual_access:  read_only
        .address_space:  global
        .offset:         88
        .size:           8
        .value_kind:     global_buffer
      - .actual_access:  write_only
        .address_space:  global
        .offset:         96
        .size:           8
        .value_kind:     global_buffer
    .group_segment_fixed_size: 0
    .kernarg_segment_align: 8
    .kernarg_segment_size: 104
    .language:       OpenCL C
    .language_version:
      - 2
      - 0
    .max_flat_workgroup_size: 119
    .name:           fft_rtc_back_len289_factors_17_17_wgs_119_tpt_17_half_op_CI_CI_sbrc_z_xy_aligned
    .private_segment_fixed_size: 0
    .sgpr_count:     28
    .sgpr_spill_count: 0
    .symbol:         fft_rtc_back_len289_factors_17_17_wgs_119_tpt_17_half_op_CI_CI_sbrc_z_xy_aligned.kd
    .uniform_work_group_size: 1
    .uses_dynamic_stack: false
    .vgpr_count:     70
    .vgpr_spill_count: 0
    .wavefront_size: 32
    .workgroup_processor_mode: 1
amdhsa.target:   amdgcn-amd-amdhsa--gfx1201
amdhsa.version:
  - 1
  - 2
...

	.end_amdgpu_metadata
